;; amdgpu-corpus repo=ROCm/rocFFT kind=compiled arch=gfx1100 opt=O3
	.text
	.amdgcn_target "amdgcn-amd-amdhsa--gfx1100"
	.amdhsa_code_object_version 6
	.protected	fft_rtc_back_len714_factors_3_17_7_2_wgs_51_tpt_51_halfLds_dp_op_CI_CI_unitstride_sbrr_dirReg ; -- Begin function fft_rtc_back_len714_factors_3_17_7_2_wgs_51_tpt_51_halfLds_dp_op_CI_CI_unitstride_sbrr_dirReg
	.globl	fft_rtc_back_len714_factors_3_17_7_2_wgs_51_tpt_51_halfLds_dp_op_CI_CI_unitstride_sbrr_dirReg
	.p2align	8
	.type	fft_rtc_back_len714_factors_3_17_7_2_wgs_51_tpt_51_halfLds_dp_op_CI_CI_unitstride_sbrr_dirReg,@function
fft_rtc_back_len714_factors_3_17_7_2_wgs_51_tpt_51_halfLds_dp_op_CI_CI_unitstride_sbrr_dirReg: ; @fft_rtc_back_len714_factors_3_17_7_2_wgs_51_tpt_51_halfLds_dp_op_CI_CI_unitstride_sbrr_dirReg
; %bb.0:
	s_clause 0x2
	s_load_b128 s[8:11], s[0:1], 0x0
	s_load_b128 s[4:7], s[0:1], 0x58
	;; [unrolled: 1-line block ×3, first 2 shown]
	v_mul_u32_u24_e32 v1, 0x506, v0
	v_mov_b32_e32 v4, 0
	v_mov_b32_e32 v5, 0
	s_delay_alu instid0(VALU_DEP_3) | instskip(NEXT) | instid1(VALU_DEP_1)
	v_lshrrev_b32_e32 v2, 16, v1
	v_dual_mov_b32 v1, 0 :: v_dual_add_nc_u32 v6, s15, v2
	s_delay_alu instid0(VALU_DEP_1) | instskip(SKIP_2) | instid1(VALU_DEP_1)
	v_mov_b32_e32 v7, v1
	s_waitcnt lgkmcnt(0)
	v_cmp_lt_u64_e64 s2, s[10:11], 2
	s_and_b32 vcc_lo, exec_lo, s2
	s_cbranch_vccnz .LBB0_8
; %bb.1:
	s_load_b64 s[2:3], s[0:1], 0x10
	v_mov_b32_e32 v4, 0
	v_mov_b32_e32 v5, 0
	s_add_u32 s12, s18, 8
	s_addc_u32 s13, s19, 0
	s_add_u32 s14, s16, 8
	s_addc_u32 s15, s17, 0
	v_dual_mov_b32 v91, v5 :: v_dual_mov_b32 v90, v4
	s_mov_b64 s[22:23], 1
	s_waitcnt lgkmcnt(0)
	s_add_u32 s20, s2, 8
	s_addc_u32 s21, s3, 0
.LBB0_2:                                ; =>This Inner Loop Header: Depth=1
	s_load_b64 s[24:25], s[20:21], 0x0
                                        ; implicit-def: $vgpr94_vgpr95
	s_mov_b32 s2, exec_lo
	s_waitcnt lgkmcnt(0)
	v_or_b32_e32 v2, s25, v7
	s_delay_alu instid0(VALU_DEP_1)
	v_cmpx_ne_u64_e32 0, v[1:2]
	s_xor_b32 s3, exec_lo, s2
	s_cbranch_execz .LBB0_4
; %bb.3:                                ;   in Loop: Header=BB0_2 Depth=1
	v_cvt_f32_u32_e32 v2, s24
	v_cvt_f32_u32_e32 v3, s25
	s_sub_u32 s2, 0, s24
	s_subb_u32 s26, 0, s25
	s_delay_alu instid0(VALU_DEP_1) | instskip(NEXT) | instid1(VALU_DEP_1)
	v_fmac_f32_e32 v2, 0x4f800000, v3
	v_rcp_f32_e32 v2, v2
	s_waitcnt_depctr 0xfff
	v_mul_f32_e32 v2, 0x5f7ffffc, v2
	s_delay_alu instid0(VALU_DEP_1) | instskip(NEXT) | instid1(VALU_DEP_1)
	v_mul_f32_e32 v3, 0x2f800000, v2
	v_trunc_f32_e32 v3, v3
	s_delay_alu instid0(VALU_DEP_1) | instskip(SKIP_1) | instid1(VALU_DEP_2)
	v_fmac_f32_e32 v2, 0xcf800000, v3
	v_cvt_u32_f32_e32 v3, v3
	v_cvt_u32_f32_e32 v2, v2
	s_delay_alu instid0(VALU_DEP_2) | instskip(NEXT) | instid1(VALU_DEP_2)
	v_mul_lo_u32 v8, s2, v3
	v_mul_hi_u32 v9, s2, v2
	v_mul_lo_u32 v10, s26, v2
	s_delay_alu instid0(VALU_DEP_2) | instskip(SKIP_1) | instid1(VALU_DEP_2)
	v_add_nc_u32_e32 v8, v9, v8
	v_mul_lo_u32 v9, s2, v2
	v_add_nc_u32_e32 v8, v8, v10
	s_delay_alu instid0(VALU_DEP_2) | instskip(NEXT) | instid1(VALU_DEP_2)
	v_mul_hi_u32 v10, v2, v9
	v_mul_lo_u32 v11, v2, v8
	v_mul_hi_u32 v12, v2, v8
	v_mul_hi_u32 v13, v3, v9
	v_mul_lo_u32 v9, v3, v9
	v_mul_hi_u32 v14, v3, v8
	v_mul_lo_u32 v8, v3, v8
	v_add_co_u32 v10, vcc_lo, v10, v11
	v_add_co_ci_u32_e32 v11, vcc_lo, 0, v12, vcc_lo
	s_delay_alu instid0(VALU_DEP_2) | instskip(NEXT) | instid1(VALU_DEP_2)
	v_add_co_u32 v9, vcc_lo, v10, v9
	v_add_co_ci_u32_e32 v9, vcc_lo, v11, v13, vcc_lo
	v_add_co_ci_u32_e32 v10, vcc_lo, 0, v14, vcc_lo
	s_delay_alu instid0(VALU_DEP_2) | instskip(NEXT) | instid1(VALU_DEP_2)
	v_add_co_u32 v8, vcc_lo, v9, v8
	v_add_co_ci_u32_e32 v9, vcc_lo, 0, v10, vcc_lo
	s_delay_alu instid0(VALU_DEP_2) | instskip(NEXT) | instid1(VALU_DEP_2)
	v_add_co_u32 v2, vcc_lo, v2, v8
	v_add_co_ci_u32_e32 v3, vcc_lo, v3, v9, vcc_lo
	s_delay_alu instid0(VALU_DEP_2) | instskip(SKIP_1) | instid1(VALU_DEP_3)
	v_mul_hi_u32 v8, s2, v2
	v_mul_lo_u32 v10, s26, v2
	v_mul_lo_u32 v9, s2, v3
	s_delay_alu instid0(VALU_DEP_1) | instskip(SKIP_1) | instid1(VALU_DEP_2)
	v_add_nc_u32_e32 v8, v8, v9
	v_mul_lo_u32 v9, s2, v2
	v_add_nc_u32_e32 v8, v8, v10
	s_delay_alu instid0(VALU_DEP_2) | instskip(NEXT) | instid1(VALU_DEP_2)
	v_mul_hi_u32 v10, v2, v9
	v_mul_lo_u32 v11, v2, v8
	v_mul_hi_u32 v12, v2, v8
	v_mul_hi_u32 v13, v3, v9
	v_mul_lo_u32 v9, v3, v9
	v_mul_hi_u32 v14, v3, v8
	v_mul_lo_u32 v8, v3, v8
	v_add_co_u32 v10, vcc_lo, v10, v11
	v_add_co_ci_u32_e32 v11, vcc_lo, 0, v12, vcc_lo
	s_delay_alu instid0(VALU_DEP_2) | instskip(NEXT) | instid1(VALU_DEP_2)
	v_add_co_u32 v9, vcc_lo, v10, v9
	v_add_co_ci_u32_e32 v9, vcc_lo, v11, v13, vcc_lo
	v_add_co_ci_u32_e32 v10, vcc_lo, 0, v14, vcc_lo
	s_delay_alu instid0(VALU_DEP_2) | instskip(NEXT) | instid1(VALU_DEP_2)
	v_add_co_u32 v8, vcc_lo, v9, v8
	v_add_co_ci_u32_e32 v9, vcc_lo, 0, v10, vcc_lo
	s_delay_alu instid0(VALU_DEP_2) | instskip(NEXT) | instid1(VALU_DEP_2)
	v_add_co_u32 v10, vcc_lo, v2, v8
	v_add_co_ci_u32_e32 v12, vcc_lo, v3, v9, vcc_lo
	s_delay_alu instid0(VALU_DEP_2) | instskip(SKIP_1) | instid1(VALU_DEP_3)
	v_mul_hi_u32 v13, v6, v10
	v_mad_u64_u32 v[8:9], null, v7, v10, 0
	v_mad_u64_u32 v[2:3], null, v6, v12, 0
	;; [unrolled: 1-line block ×3, first 2 shown]
	s_delay_alu instid0(VALU_DEP_2) | instskip(NEXT) | instid1(VALU_DEP_3)
	v_add_co_u32 v2, vcc_lo, v13, v2
	v_add_co_ci_u32_e32 v3, vcc_lo, 0, v3, vcc_lo
	s_delay_alu instid0(VALU_DEP_2) | instskip(NEXT) | instid1(VALU_DEP_2)
	v_add_co_u32 v2, vcc_lo, v2, v8
	v_add_co_ci_u32_e32 v2, vcc_lo, v3, v9, vcc_lo
	v_add_co_ci_u32_e32 v3, vcc_lo, 0, v11, vcc_lo
	s_delay_alu instid0(VALU_DEP_2) | instskip(NEXT) | instid1(VALU_DEP_2)
	v_add_co_u32 v8, vcc_lo, v2, v10
	v_add_co_ci_u32_e32 v9, vcc_lo, 0, v3, vcc_lo
	s_delay_alu instid0(VALU_DEP_2) | instskip(SKIP_1) | instid1(VALU_DEP_3)
	v_mul_lo_u32 v10, s25, v8
	v_mad_u64_u32 v[2:3], null, s24, v8, 0
	v_mul_lo_u32 v11, s24, v9
	s_delay_alu instid0(VALU_DEP_2) | instskip(NEXT) | instid1(VALU_DEP_2)
	v_sub_co_u32 v2, vcc_lo, v6, v2
	v_add3_u32 v3, v3, v11, v10
	s_delay_alu instid0(VALU_DEP_1) | instskip(NEXT) | instid1(VALU_DEP_1)
	v_sub_nc_u32_e32 v10, v7, v3
	v_subrev_co_ci_u32_e64 v10, s2, s25, v10, vcc_lo
	v_add_co_u32 v11, s2, v8, 2
	s_delay_alu instid0(VALU_DEP_1) | instskip(SKIP_3) | instid1(VALU_DEP_3)
	v_add_co_ci_u32_e64 v12, s2, 0, v9, s2
	v_sub_co_u32 v13, s2, v2, s24
	v_sub_co_ci_u32_e32 v3, vcc_lo, v7, v3, vcc_lo
	v_subrev_co_ci_u32_e64 v10, s2, 0, v10, s2
	v_cmp_le_u32_e32 vcc_lo, s24, v13
	s_delay_alu instid0(VALU_DEP_3) | instskip(SKIP_1) | instid1(VALU_DEP_4)
	v_cmp_eq_u32_e64 s2, s25, v3
	v_cndmask_b32_e64 v13, 0, -1, vcc_lo
	v_cmp_le_u32_e32 vcc_lo, s25, v10
	v_cndmask_b32_e64 v14, 0, -1, vcc_lo
	v_cmp_le_u32_e32 vcc_lo, s24, v2
	;; [unrolled: 2-line block ×3, first 2 shown]
	v_cndmask_b32_e64 v15, 0, -1, vcc_lo
	v_cmp_eq_u32_e32 vcc_lo, s25, v10
	s_delay_alu instid0(VALU_DEP_2) | instskip(SKIP_3) | instid1(VALU_DEP_3)
	v_cndmask_b32_e64 v2, v15, v2, s2
	v_cndmask_b32_e32 v10, v14, v13, vcc_lo
	v_add_co_u32 v13, vcc_lo, v8, 1
	v_add_co_ci_u32_e32 v14, vcc_lo, 0, v9, vcc_lo
	v_cmp_ne_u32_e32 vcc_lo, 0, v10
	s_delay_alu instid0(VALU_DEP_2) | instskip(SKIP_1) | instid1(VALU_DEP_2)
	v_dual_cndmask_b32 v3, v14, v12 :: v_dual_cndmask_b32 v10, v13, v11
	v_cmp_ne_u32_e32 vcc_lo, 0, v2
	v_dual_cndmask_b32 v95, v9, v3 :: v_dual_cndmask_b32 v94, v8, v10
.LBB0_4:                                ;   in Loop: Header=BB0_2 Depth=1
	s_and_not1_saveexec_b32 s2, s3
	s_cbranch_execz .LBB0_6
; %bb.5:                                ;   in Loop: Header=BB0_2 Depth=1
	v_cvt_f32_u32_e32 v2, s24
	s_sub_i32 s3, 0, s24
	v_mov_b32_e32 v95, v1
	s_delay_alu instid0(VALU_DEP_2) | instskip(SKIP_2) | instid1(VALU_DEP_1)
	v_rcp_iflag_f32_e32 v2, v2
	s_waitcnt_depctr 0xfff
	v_mul_f32_e32 v2, 0x4f7ffffe, v2
	v_cvt_u32_f32_e32 v2, v2
	s_delay_alu instid0(VALU_DEP_1) | instskip(NEXT) | instid1(VALU_DEP_1)
	v_mul_lo_u32 v3, s3, v2
	v_mul_hi_u32 v3, v2, v3
	s_delay_alu instid0(VALU_DEP_1) | instskip(NEXT) | instid1(VALU_DEP_1)
	v_add_nc_u32_e32 v2, v2, v3
	v_mul_hi_u32 v2, v6, v2
	s_delay_alu instid0(VALU_DEP_1) | instskip(SKIP_1) | instid1(VALU_DEP_2)
	v_mul_lo_u32 v3, v2, s24
	v_add_nc_u32_e32 v8, 1, v2
	v_sub_nc_u32_e32 v3, v6, v3
	s_delay_alu instid0(VALU_DEP_1) | instskip(SKIP_1) | instid1(VALU_DEP_2)
	v_subrev_nc_u32_e32 v9, s24, v3
	v_cmp_le_u32_e32 vcc_lo, s24, v3
	v_dual_cndmask_b32 v3, v3, v9 :: v_dual_cndmask_b32 v2, v2, v8
	s_delay_alu instid0(VALU_DEP_1) | instskip(NEXT) | instid1(VALU_DEP_2)
	v_cmp_le_u32_e32 vcc_lo, s24, v3
	v_add_nc_u32_e32 v8, 1, v2
	s_delay_alu instid0(VALU_DEP_1)
	v_cndmask_b32_e32 v94, v2, v8, vcc_lo
.LBB0_6:                                ;   in Loop: Header=BB0_2 Depth=1
	s_or_b32 exec_lo, exec_lo, s2
	s_delay_alu instid0(VALU_DEP_1) | instskip(NEXT) | instid1(VALU_DEP_2)
	v_mul_lo_u32 v8, v95, s24
	v_mul_lo_u32 v9, v94, s25
	s_load_b64 s[2:3], s[14:15], 0x0
	v_mad_u64_u32 v[2:3], null, v94, s24, 0
	s_load_b64 s[24:25], s[12:13], 0x0
	s_add_u32 s22, s22, 1
	s_addc_u32 s23, s23, 0
	s_add_u32 s12, s12, 8
	s_addc_u32 s13, s13, 0
	s_add_u32 s14, s14, 8
	s_delay_alu instid0(VALU_DEP_1) | instskip(SKIP_3) | instid1(VALU_DEP_2)
	v_add3_u32 v3, v3, v9, v8
	v_sub_co_u32 v8, vcc_lo, v6, v2
	s_addc_u32 s15, s15, 0
	s_add_u32 s20, s20, 8
	v_sub_co_ci_u32_e32 v6, vcc_lo, v7, v3, vcc_lo
	s_addc_u32 s21, s21, 0
	s_waitcnt lgkmcnt(0)
	s_delay_alu instid0(VALU_DEP_1)
	v_mul_lo_u32 v9, s2, v6
	v_mul_lo_u32 v10, s3, v8
	v_mad_u64_u32 v[2:3], null, s2, v8, v[4:5]
	v_mul_lo_u32 v11, s24, v6
	v_mul_lo_u32 v12, s25, v8
	v_mad_u64_u32 v[6:7], null, s24, v8, v[90:91]
	v_cmp_ge_u64_e64 s2, s[22:23], s[10:11]
	v_add3_u32 v5, v10, v3, v9
	v_mov_b32_e32 v4, v2
	s_delay_alu instid0(VALU_DEP_4)
	v_add3_u32 v91, v12, v7, v11
	v_mov_b32_e32 v90, v6
	s_and_b32 vcc_lo, exec_lo, s2
	s_cbranch_vccnz .LBB0_9
; %bb.7:                                ;   in Loop: Header=BB0_2 Depth=1
	v_dual_mov_b32 v6, v94 :: v_dual_mov_b32 v7, v95
	s_branch .LBB0_2
.LBB0_8:
	v_dual_mov_b32 v91, v5 :: v_dual_mov_b32 v90, v4
	v_dual_mov_b32 v95, v7 :: v_dual_mov_b32 v94, v6
.LBB0_9:
	s_load_b64 s[0:1], s[0:1], 0x28
	v_mul_hi_u32 v1, 0x5050506, v0
	s_lshl_b64 s[10:11], s[10:11], 3
                                        ; implicit-def: $vgpr92
	s_delay_alu instid0(SALU_CYCLE_1) | instskip(SKIP_4) | instid1(VALU_DEP_1)
	s_add_u32 s2, s18, s10
	s_addc_u32 s3, s19, s11
	s_waitcnt lgkmcnt(0)
	v_cmp_gt_u64_e32 vcc_lo, s[0:1], v[94:95]
	v_cmp_le_u64_e64 s0, s[0:1], v[94:95]
	s_and_saveexec_b32 s1, s0
	s_delay_alu instid0(SALU_CYCLE_1)
	s_xor_b32 s0, exec_lo, s1
; %bb.10:
	v_mul_u32_u24_e32 v1, 51, v1
                                        ; implicit-def: $vgpr4_vgpr5
	s_delay_alu instid0(VALU_DEP_1)
	v_sub_nc_u32_e32 v92, v0, v1
                                        ; implicit-def: $vgpr1
                                        ; implicit-def: $vgpr0
; %bb.11:
	s_or_saveexec_b32 s1, s0
	s_load_b64 s[2:3], s[2:3], 0x0
                                        ; implicit-def: $vgpr88_vgpr89
                                        ; implicit-def: $vgpr84_vgpr85
                                        ; implicit-def: $vgpr76_vgpr77
                                        ; implicit-def: $vgpr60_vgpr61
                                        ; implicit-def: $vgpr68_vgpr69
                                        ; implicit-def: $vgpr48_vgpr49
                                        ; implicit-def: $vgpr56_vgpr57
                                        ; implicit-def: $vgpr64_vgpr65
                                        ; implicit-def: $vgpr40_vgpr41
                                        ; implicit-def: $vgpr44_vgpr45
                                        ; implicit-def: $vgpr72_vgpr73
                                        ; implicit-def: $vgpr36_vgpr37
                                        ; implicit-def: $vgpr52_vgpr53
                                        ; implicit-def: $vgpr80_vgpr81
                                        ; implicit-def: $vgpr2_vgpr3
	s_xor_b32 exec_lo, exec_lo, s1
	s_cbranch_execz .LBB0_15
; %bb.12:
	s_add_u32 s10, s16, s10
	s_addc_u32 s11, s17, s11
                                        ; implicit-def: $vgpr74_vgpr75
                                        ; implicit-def: $vgpr82_vgpr83
                                        ; implicit-def: $vgpr86_vgpr87
	s_load_b64 s[10:11], s[10:11], 0x0
	s_waitcnt lgkmcnt(0)
	v_mul_lo_u32 v6, s11, v94
	v_mul_lo_u32 v7, s10, v95
	v_mad_u64_u32 v[2:3], null, s10, v94, 0
	s_delay_alu instid0(VALU_DEP_1) | instskip(SKIP_1) | instid1(VALU_DEP_2)
	v_add3_u32 v3, v3, v7, v6
	v_mul_u32_u24_e32 v6, 51, v1
	v_lshlrev_b64 v[1:2], 4, v[2:3]
	v_lshlrev_b64 v[3:4], 4, v[4:5]
	s_delay_alu instid0(VALU_DEP_3) | instskip(NEXT) | instid1(VALU_DEP_3)
	v_sub_nc_u32_e32 v92, v0, v6
	v_add_co_u32 v0, s0, s4, v1
	s_delay_alu instid0(VALU_DEP_1) | instskip(NEXT) | instid1(VALU_DEP_3)
	v_add_co_ci_u32_e64 v1, s0, s5, v2, s0
	v_lshlrev_b32_e32 v2, 4, v92
	s_delay_alu instid0(VALU_DEP_3) | instskip(NEXT) | instid1(VALU_DEP_1)
	v_add_co_u32 v0, s0, v0, v3
	v_add_co_ci_u32_e64 v1, s0, v1, v4, s0
	s_mov_b32 s4, exec_lo
	s_delay_alu instid0(VALU_DEP_2) | instskip(NEXT) | instid1(VALU_DEP_1)
	v_add_co_u32 v4, s0, v0, v2
	v_add_co_ci_u32_e64 v5, s0, 0, v1, s0
	s_clause 0x1
	global_load_b128 v[0:3], v[4:5], off
	global_load_b128 v[34:37], v[4:5], off offset:816
	v_add_co_u32 v6, s0, 0x1000, v4
	s_delay_alu instid0(VALU_DEP_1) | instskip(SKIP_1) | instid1(VALU_DEP_1)
	v_add_co_ci_u32_e64 v7, s0, 0, v5, s0
	v_add_co_u32 v8, s0, 0x2000, v4
	v_add_co_ci_u32_e64 v9, s0, 0, v5, s0
	s_clause 0x9
	global_load_b128 v[38:41], v[4:5], off offset:1632
	global_load_b128 v[46:49], v[4:5], off offset:2448
	;; [unrolled: 1-line block ×10, first 2 shown]
	v_cmpx_gt_u32_e32 34, v92
; %bb.13:
	s_clause 0x2
	global_load_b128 v[74:77], v[4:5], off offset:3264
	global_load_b128 v[82:85], v[6:7], off offset:2976
	;; [unrolled: 1-line block ×3, first 2 shown]
; %bb.14:
	s_or_b32 exec_lo, exec_lo, s4
.LBB0_15:
	s_delay_alu instid0(SALU_CYCLE_1)
	s_or_b32 exec_lo, exec_lo, s1
	s_waitcnt vmcnt(1)
	v_add_f64 v[4:5], v[54:55], v[62:63]
	s_waitcnt vmcnt(0)
	v_add_f64 v[6:7], v[58:59], v[66:67]
	v_add_f64 v[8:9], v[50:51], v[78:79]
	;; [unrolled: 1-line block ×5, first 2 shown]
	v_add_f64 v[16:17], v[64:65], -v[56:57]
	v_add_f64 v[20:21], v[68:69], -v[60:61]
	v_add_f64 v[18:19], v[70:71], v[34:35]
	v_add_f64 v[22:23], v[66:67], v[46:47]
	;; [unrolled: 1-line block ×4, first 2 shown]
	v_add_f64 v[96:97], v[72:73], -v[44:45]
	s_mov_b32 s0, 0xe8584caa
	s_mov_b32 s1, 0xbfebb67a
	;; [unrolled: 1-line block ×4, first 2 shown]
	v_mad_u32_u24 v93, v92, 24, 0
	v_fma_f64 v[32:33], v[4:5], -0.5, v[38:39]
	v_add_f64 v[38:39], v[80:81], -v[52:53]
	v_fma_f64 v[46:47], v[6:7], -0.5, v[46:47]
	v_fma_f64 v[0:1], v[8:9], -0.5, v[0:1]
	;; [unrolled: 1-line block ×3, first 2 shown]
	v_add_f64 v[34:35], v[84:85], -v[88:89]
	v_fma_f64 v[98:99], v[12:13], -0.5, v[74:75]
	v_add_f64 v[28:29], v[54:55], v[14:15]
	v_add_f64 v[18:19], v[42:43], v[18:19]
	v_add_f64 v[12:13], v[58:59], v[22:23]
	v_add_f64 v[4:5], v[50:51], v[24:25]
	v_add_f64 v[8:9], v[86:87], v[26:27]
	v_fma_f64 v[30:31], v[16:17], s[0:1], v[32:33]
	v_fma_f64 v[16:17], v[16:17], s[4:5], v[32:33]
	;; [unrolled: 1-line block ×10, first 2 shown]
	v_add_nc_u32_e32 v0, 0x800, v93
	v_cmp_gt_u32_e64 s1, 34, v92
	v_add_nc_u32_e32 v97, 0x990, v93
	v_add_nc_u32_e32 v98, 0xe58, v93
	v_add_nc_u32_e32 v96, 0x1320, v93
	ds_store_2addr_b64 v0, v[16:17], v[14:15] offset0:52 offset1:205
	ds_store_2addr_b64 v93, v[4:5], v[6:7] offset1:1
	ds_store_2addr_b64 v93, v[18:19], v[74:75] offset0:153 offset1:154
	ds_store_2addr_b64 v93, v[32:33], v[26:27] offset0:2 offset1:155
	ds_store_2addr_b64 v97, v[28:29], v[30:31] offset1:1
	ds_store_2addr_b64 v98, v[12:13], v[24:25] offset1:1
	s_and_saveexec_b32 s0, s1
	s_cbranch_execz .LBB0_17
; %bb.16:
	ds_store_2addr_b64 v96, v[8:9], v[10:11] offset1:1
	ds_store_b64 v93, v[20:21] offset:4912
.LBB0_17:
	s_or_b32 exec_lo, exec_lo, s0
	v_cmp_gt_u32_e64 s0, 42, v92
	s_waitcnt lgkmcnt(0)
	s_barrier
	buffer_gl0_inv
                                        ; implicit-def: $vgpr100_vgpr101
	s_and_saveexec_b32 s4, s0
	s_cbranch_execz .LBB0_19
; %bb.18:
	v_lshlrev_b32_e32 v0, 4, v92
	s_delay_alu instid0(VALU_DEP_1)
	v_sub_nc_u32_e32 v0, v93, v0
	ds_load_2addr_b64 v[32:35], v0 offset0:84 offset1:126
	ds_load_2addr_b64 v[24:27], v0 offset0:168 offset1:210
	v_add_nc_u32_e32 v1, 0x800, v0
	s_waitcnt lgkmcnt(0)
	v_dual_mov_b32 v75, v25 :: v_dual_mov_b32 v74, v24
	ds_load_2addr_b64 v[12:15], v1 offset0:164 offset1:206
	ds_load_2addr_b64 v[16:19], v1 offset0:80 offset1:122
	v_add_nc_u32_e32 v8, 0x400, v0
	v_add_nc_u32_e32 v9, 0xc00, v0
	;; [unrolled: 1-line block ×3, first 2 shown]
	s_waitcnt lgkmcnt(1)
	v_dual_mov_b32 v25, v13 :: v_dual_mov_b32 v24, v12
	s_waitcnt lgkmcnt(0)
	v_mov_b32_e32 v12, v18
	ds_load_2addr_b64 v[4:7], v0 offset1:42
	ds_load_b64 v[100:101], v0 offset:5376
	ds_load_2addr_b64 v[28:31], v8 offset0:124 offset1:166
	ds_load_2addr_b64 v[8:11], v9 offset0:120 offset1:162
	;; [unrolled: 1-line block ×3, first 2 shown]
	v_dual_mov_b32 v13, v19 :: v_dual_mov_b32 v18, v34
	v_mov_b32_e32 v19, v35
.LBB0_19:
	s_or_b32 exec_lo, exec_lo, s4
	v_add_f64 v[0:1], v[52:53], v[80:81]
	v_add_f64 v[34:35], v[44:45], v[72:73]
	;; [unrolled: 1-line block ×6, first 2 shown]
	v_add_f64 v[50:51], v[78:79], -v[50:51]
	v_add_f64 v[72:73], v[72:73], v[36:37]
	v_add_f64 v[64:65], v[64:65], v[40:41]
	;; [unrolled: 1-line block ×4, first 2 shown]
	v_add_f64 v[70:71], v[70:71], -v[42:43]
	v_add_f64 v[54:55], v[62:63], -v[54:55]
	;; [unrolled: 1-line block ×3, first 2 shown]
	s_mov_b32 s4, 0xe8584caa
	s_mov_b32 s5, 0x3febb67a
	;; [unrolled: 1-line block ×4, first 2 shown]
	s_waitcnt lgkmcnt(0)
	s_barrier
	buffer_gl0_inv
	v_fma_f64 v[84:85], v[0:1], -0.5, v[2:3]
	v_fma_f64 v[36:37], v[34:35], -0.5, v[36:37]
	v_fma_f64 v[40:41], v[38:39], -0.5, v[40:41]
	v_fma_f64 v[46:47], v[46:47], -0.5, v[48:49]
	v_add_f64 v[48:49], v[82:83], -v[86:87]
	v_fma_f64 v[66:67], v[102:103], -0.5, v[76:77]
	v_add_f64 v[0:1], v[52:53], v[80:81]
	v_add_f64 v[72:73], v[44:45], v[72:73]
	;; [unrolled: 1-line block ×5, first 2 shown]
	v_fma_f64 v[2:3], v[50:51], s[4:5], v[84:85]
	v_fma_f64 v[38:39], v[50:51], s[10:11], v[84:85]
	;; [unrolled: 1-line block ×10, first 2 shown]
	v_add_nc_u32_e32 v40, 0x800, v93
	ds_store_2addr_b64 v93, v[0:1], v[2:3] offset1:1
	ds_store_2addr_b64 v93, v[72:73], v[76:77] offset0:153 offset1:154
	ds_store_2addr_b64 v93, v[38:39], v[44:45] offset0:2 offset1:155
	ds_store_2addr_b64 v97, v[58:59], v[60:61] offset1:1
	ds_store_2addr_b64 v98, v[42:43], v[78:79] offset1:1
	ds_store_2addr_b64 v40, v[54:55], v[52:53] offset0:52 offset1:205
	s_and_saveexec_b32 s4, s1
	s_cbranch_execz .LBB0_21
; %bb.20:
	ds_store_2addr_b64 v96, v[34:35], v[36:37] offset1:1
	ds_store_b64 v93, v[46:47] offset:4912
.LBB0_21:
	s_or_b32 exec_lo, exec_lo, s4
	v_lshl_add_u32 v104, v92, 3, 0
	s_waitcnt lgkmcnt(0)
	s_barrier
	buffer_gl0_inv
                                        ; implicit-def: $vgpr102_vgpr103
	s_and_saveexec_b32 s1, s0
	s_cbranch_execz .LBB0_23
; %bb.22:
	ds_load_2addr_b64 v[38:41], v104 offset0:84 offset1:126
	ds_load_2addr_b64 v[42:45], v104 offset0:168 offset1:210
	v_add_nc_u32_e32 v0, 0x800, v104
	v_add_nc_u32_e32 v35, 0xc00, v104
	s_waitcnt lgkmcnt(1)
	v_mov_b32_e32 v73, v41
	s_waitcnt lgkmcnt(0)
	v_dual_mov_b32 v77, v43 :: v_dual_mov_b32 v76, v42
	ds_load_2addr_b64 v[50:53], v0 offset0:164 offset1:206
	ds_load_2addr_b64 v[54:57], v0 offset0:80 offset1:122
	v_add_nc_u32_e32 v34, 0x400, v104
	v_add_nc_u32_e32 v46, 0x1000, v104
	s_waitcnt lgkmcnt(1)
	v_dual_mov_b32 v72, v40 :: v_dual_mov_b32 v79, v51
	s_waitcnt lgkmcnt(0)
	v_dual_mov_b32 v42, v56 :: v_dual_mov_b32 v43, v57
	ds_load_2addr_b64 v[0:3], v104 offset1:42
	ds_load_b64 v[102:103], v104 offset:5376
	ds_load_2addr_b64 v[58:61], v34 offset0:124 offset1:166
	ds_load_2addr_b64 v[34:37], v35 offset0:120 offset1:162
	;; [unrolled: 1-line block ×3, first 2 shown]
	v_mov_b32_e32 v78, v50
.LBB0_23:
	s_or_b32 exec_lo, exec_lo, s1
	v_and_b32_e32 v40, 0xff, v92
	s_delay_alu instid0(VALU_DEP_1) | instskip(NEXT) | instid1(VALU_DEP_1)
	v_mul_lo_u16 v40, 0xab, v40
	v_lshrrev_b16 v93, 9, v40
	s_delay_alu instid0(VALU_DEP_1) | instskip(SKIP_1) | instid1(VALU_DEP_2)
	v_mul_lo_u16 v40, v93, 3
	v_and_b32_e32 v93, 0xffff, v93
	v_sub_nc_u16 v40, v92, v40
	s_delay_alu instid0(VALU_DEP_1) | instskip(NEXT) | instid1(VALU_DEP_1)
	v_and_b32_e32 v179, 0xff, v40
	v_lshlrev_b32_e32 v40, 8, v179
	s_clause 0xf
	global_load_b128 v[62:65], v40, s[8:9] offset:16
	global_load_b128 v[66:69], v40, s[8:9] offset:64
	;; [unrolled: 1-line block ×10, first 2 shown]
	global_load_b128 v[125:128], v40, s[8:9]
	global_load_b128 v[129:132], v40, s[8:9] offset:176
	global_load_b128 v[133:136], v40, s[8:9] offset:192
	;; [unrolled: 1-line block ×5, first 2 shown]
	s_waitcnt vmcnt(0) lgkmcnt(0)
	s_barrier
	buffer_gl0_inv
	v_mul_f64 v[40:41], v[38:39], v[64:65]
	v_mul_f64 v[50:51], v[32:33], v[64:65]
	;; [unrolled: 1-line block ×32, first 2 shown]
	v_fma_f64 v[80:81], v[32:33], v[62:63], v[40:41]
	v_fma_f64 v[88:89], v[38:39], v[62:63], -v[50:51]
	v_fma_f64 v[68:69], v[26:27], v[66:67], v[56:57]
	v_fma_f64 v[70:71], v[44:45], v[66:67], -v[64:65]
	;; [unrolled: 2-line block ×16, first 2 shown]
	v_lshlrev_b32_e32 v100, 3, v179
	s_and_saveexec_b32 s1, s0
	s_cbranch_execz .LBB0_25
; %bb.24:
	v_add_f64 v[2:3], v[4:5], v[96:97]
	s_delay_alu instid0(VALU_DEP_3)
	v_add_f64 v[6:7], v[98:99], -v[30:31]
	s_mov_b32 s38, 0x923c349f
	s_mov_b32 s40, 0x7c9e640b
	;; [unrolled: 1-line block ×20, first 2 shown]
	v_add_f64 v[8:9], v[96:97], v[48:49]
	v_add_f64 v[10:11], v[88:89], -v[32:33]
	s_mov_b32 s30, 0x5d8e7cdc
	s_mov_b32 s31, 0x3fd71e95
	;; [unrolled: 1-line block ×14, first 2 shown]
	v_add_f64 v[2:3], v[2:3], v[80:81]
	v_mul_f64 v[111:112], v[6:7], s[34:35]
	v_mul_f64 v[113:114], v[6:7], s[28:29]
	v_mul_f64 v[115:116], v[6:7], s[24:25]
	v_mul_f64 v[117:118], v[6:7], s[38:39]
	v_mul_f64 v[119:120], v[6:7], s[54:55]
	v_mul_f64 v[121:122], v[6:7], s[50:51]
	v_mul_f64 v[123:124], v[6:7], s[42:43]
	v_mul_f64 v[6:7], v[6:7], s[44:45]
	s_mov_b32 s13, 0x3fe7a5f6
	s_mov_b32 s11, 0xbfeb34fa
	;; [unrolled: 1-line block ×8, first 2 shown]
	v_add_f64 v[12:13], v[80:81], v[46:47]
	v_add_f64 v[14:15], v[84:85], -v[34:35]
	s_mov_b32 s14, 0x370991
	s_mov_b32 s15, 0x3fedd6d0
	;; [unrolled: 1-line block ×4, first 2 shown]
	v_mul_f64 v[125:126], v[10:11], s[30:31]
	v_mul_f64 v[127:128], v[10:11], s[40:41]
	;; [unrolled: 1-line block ×8, first 2 shown]
	v_add_f64 v[16:17], v[82:83], v[86:87]
	v_add_f64 v[18:19], v[76:77], -v[36:37]
	s_mov_b32 s47, 0x3fe9895b
	s_mov_b32 s46, s24
	v_add_f64 v[20:21], v[74:75], v[78:79]
	v_add_f64 v[22:23], v[70:71], -v[38:39]
	v_add_f64 v[24:25], v[68:69], v[72:73]
	v_add_f64 v[2:3], v[2:3], v[82:83]
	v_fma_f64 v[165:166], v[8:9], s[4:5], -v[111:112]
	v_fma_f64 v[111:112], v[8:9], s[4:5], v[111:112]
	v_fma_f64 v[169:170], v[8:9], s[10:11], -v[113:114]
	v_fma_f64 v[113:114], v[8:9], s[10:11], v[113:114]
	;; [unrolled: 2-line block ×3, first 2 shown]
	v_fma_f64 v[177:178], v[8:9], s[20:21], v[117:118]
	v_fma_f64 v[179:180], v[8:9], s[18:19], v[119:120]
	v_fma_f64 v[181:182], v[8:9], s[12:13], v[121:122]
	v_fma_f64 v[183:184], v[8:9], s[22:23], v[123:124]
	v_fma_f64 v[117:118], v[8:9], s[20:21], -v[117:118]
	v_fma_f64 v[123:124], v[8:9], s[22:23], -v[123:124]
	;; [unrolled: 1-line block ×4, first 2 shown]
	v_fma_f64 v[185:186], v[8:9], s[14:15], v[6:7]
	v_fma_f64 v[6:7], v[8:9], s[14:15], -v[6:7]
	v_add_f64 v[26:27], v[66:67], -v[40:41]
	v_mul_f64 v[139:140], v[14:15], s[28:29]
	v_mul_f64 v[141:142], v[14:15], s[42:43]
	;; [unrolled: 1-line block ×6, first 2 shown]
	v_fma_f64 v[193:194], v[12:13], s[14:15], -v[125:126]
	v_fma_f64 v[125:126], v[12:13], s[14:15], v[125:126]
	v_fma_f64 v[195:196], v[12:13], s[18:19], -v[127:128]
	v_fma_f64 v[127:128], v[12:13], s[18:19], v[127:128]
	;; [unrolled: 2-line block ×5, first 2 shown]
	v_fma_f64 v[203:204], v[12:13], s[16:17], v[135:136]
	v_fma_f64 v[135:136], v[12:13], s[16:17], -v[135:136]
	v_fma_f64 v[205:206], v[12:13], s[22:23], -v[137:138]
	v_fma_f64 v[137:138], v[12:13], s[22:23], v[137:138]
	v_add_f64 v[2:3], v[2:3], v[74:75]
	v_add_f64 v[165:166], v[4:5], v[165:166]
	;; [unrolled: 1-line block ×3, first 2 shown]
	v_fma_f64 v[207:208], v[12:13], s[12:13], -v[10:11]
	v_add_f64 v[169:170], v[4:5], v[169:170]
	v_fma_f64 v[10:11], v[12:13], s[12:13], v[10:11]
	v_add_f64 v[12:13], v[4:5], v[113:114]
	v_add_f64 v[175:176], v[4:5], v[175:176]
	;; [unrolled: 1-line block ×6, first 2 shown]
	v_mul_f64 v[147:148], v[14:15], s[48:49]
	v_add_f64 v[183:184], v[4:5], v[183:184]
	v_add_f64 v[117:118], v[4:5], v[117:118]
	;; [unrolled: 1-line block ×5, first 2 shown]
	v_mul_f64 v[14:15], v[14:15], s[54:55]
	v_add_f64 v[185:186], v[4:5], v[185:186]
	v_add_f64 v[4:5], v[4:5], v[6:7]
	v_mul_f64 v[153:154], v[18:19], s[26:27]
	v_mul_f64 v[155:156], v[18:19], s[46:47]
	;; [unrolled: 1-line block ×8, first 2 shown]
	v_fma_f64 v[113:114], v[16:17], s[10:11], -v[139:140]
	v_fma_f64 v[6:7], v[16:17], s[10:11], v[139:140]
	v_fma_f64 v[139:140], v[16:17], s[22:23], -v[141:142]
	v_fma_f64 v[141:142], v[16:17], s[22:23], v[141:142]
	;; [unrolled: 2-line block ×4, first 2 shown]
	v_fma_f64 v[215:216], v[16:17], s[4:5], v[149:150]
	v_add_f64 v[2:3], v[2:3], v[68:69]
	v_fma_f64 v[217:218], v[16:17], s[16:17], -v[151:152]
	v_fma_f64 v[151:152], v[16:17], s[16:17], v[151:152]
	v_add_f64 v[165:166], v[193:194], v[165:166]
	v_add_f64 v[111:112], v[125:126], v[111:112]
	;; [unrolled: 1-line block ×9, first 2 shown]
	v_fma_f64 v[213:214], v[16:17], s[20:21], -v[147:148]
	v_fma_f64 v[147:148], v[16:17], s[20:21], v[147:148]
	v_add_f64 v[133:134], v[133:134], v[183:184]
	v_add_f64 v[117:118], v[199:200], v[117:118]
	v_add_f64 v[123:124], v[201:202], v[123:124]
	v_fma_f64 v[149:150], v[16:17], s[4:5], -v[149:150]
	v_add_f64 v[119:120], v[135:136], v[119:120]
	v_add_f64 v[121:122], v[205:206], v[121:122]
	v_fma_f64 v[219:220], v[16:17], s[18:19], -v[14:15]
	v_fma_f64 v[14:15], v[16:17], s[18:19], v[14:15]
	v_add_f64 v[10:11], v[10:11], v[185:186]
	v_add_f64 v[4:5], v[207:208], v[4:5]
	v_mul_f64 v[171:172], v[22:23], s[24:25]
	v_mul_f64 v[173:174], v[22:23], s[44:45]
	;; [unrolled: 1-line block ×8, first 2 shown]
	v_fma_f64 v[183:184], v[20:21], s[12:13], -v[153:154]
	v_fma_f64 v[153:154], v[20:21], s[12:13], v[153:154]
	v_fma_f64 v[185:186], v[20:21], s[16:17], -v[155:156]
	v_fma_f64 v[155:156], v[20:21], s[16:17], v[155:156]
	v_fma_f64 v[197:198], v[20:21], s[10:11], -v[157:158]
	v_fma_f64 v[157:158], v[20:21], s[10:11], v[157:158]
	v_add_f64 v[2:3], v[2:3], v[64:65]
	v_fma_f64 v[199:200], v[20:21], s[18:19], -v[159:160]
	v_fma_f64 v[159:160], v[20:21], s[18:19], v[159:160]
	v_fma_f64 v[201:202], v[20:21], s[14:15], -v[161:162]
	v_fma_f64 v[161:162], v[20:21], s[14:15], v[161:162]
	v_fma_f64 v[203:204], v[20:21], s[20:21], v[163:164]
	v_fma_f64 v[163:164], v[20:21], s[20:21], -v[163:164]
	v_fma_f64 v[205:206], v[20:21], s[4:5], -v[167:168]
	v_fma_f64 v[167:168], v[20:21], s[4:5], v[167:168]
	v_fma_f64 v[207:208], v[20:21], s[22:23], -v[18:19]
	v_fma_f64 v[18:19], v[20:21], s[22:23], v[18:19]
	v_add_f64 v[20:21], v[113:114], v[165:166]
	v_add_f64 v[6:7], v[6:7], v[111:112]
	;; [unrolled: 1-line block ×17, first 2 shown]
	v_add_f64 v[101:102], v[56:57], -v[42:43]
	v_mul_f64 v[193:194], v[26:27], s[40:41]
	v_mul_f64 v[125:126], v[26:27], s[34:35]
	;; [unrolled: 1-line block ×8, first 2 shown]
	v_fma_f64 v[147:148], v[24:25], s[16:17], -v[171:172]
	v_add_f64 v[2:3], v[2:3], v[62:63]
	v_fma_f64 v[149:150], v[24:25], s[16:17], v[171:172]
	v_fma_f64 v[151:152], v[24:25], s[14:15], -v[173:174]
	v_fma_f64 v[165:166], v[24:25], s[14:15], v[173:174]
	v_fma_f64 v[169:170], v[24:25], s[22:23], -v[8:9]
	;; [unrolled: 2-line block ×4, first 2 shown]
	v_fma_f64 v[187:188], v[24:25], s[18:19], v[189:190]
	v_fma_f64 v[189:190], v[24:25], s[12:13], v[191:192]
	v_fma_f64 v[191:192], v[24:25], s[12:13], -v[191:192]
	v_fma_f64 v[209:210], v[24:25], s[10:11], -v[16:17]
	v_fma_f64 v[16:17], v[24:25], s[10:11], v[16:17]
	v_fma_f64 v[211:212], v[24:25], s[20:21], -v[22:23]
	v_fma_f64 v[22:23], v[24:25], s[20:21], v[22:23]
	v_add_f64 v[20:21], v[183:184], v[20:21]
	v_add_f64 v[24:25], v[185:186], v[111:112]
	;; [unrolled: 1-line block ×17, first 2 shown]
	v_add_f64 v[107:108], v[50:51], -v[44:45]
	v_mul_f64 v[181:182], v[101:102], s[38:39]
	v_mul_f64 v[14:15], v[101:102], s[26:27]
	;; [unrolled: 1-line block ×4, first 2 shown]
	v_add_f64 v[2:3], v[2:3], v[58:59]
	v_mul_f64 v[143:144], v[101:102], s[46:47]
	v_mul_f64 v[145:146], v[101:102], s[42:43]
	v_mul_f64 v[18:19], v[101:102], s[40:41]
	v_mul_f64 v[101:102], v[101:102], s[28:29]
	v_fma_f64 v[157:158], v[28:29], s[18:19], -v[193:194]
	v_fma_f64 v[159:160], v[28:29], s[18:19], v[193:194]
	v_fma_f64 v[161:162], v[28:29], s[4:5], -v[125:126]
	v_fma_f64 v[125:126], v[28:29], s[4:5], v[125:126]
	;; [unrolled: 2-line block ×5, first 2 shown]
	v_fma_f64 v[193:194], v[28:29], s[14:15], v[177:178]
	v_fma_f64 v[177:178], v[28:29], s[14:15], -v[177:178]
	v_fma_f64 v[195:196], v[28:29], s[20:21], -v[179:180]
	v_fma_f64 v[179:180], v[28:29], s[20:21], v[179:180]
	v_fma_f64 v[197:198], v[28:29], s[16:17], -v[26:27]
	v_fma_f64 v[26:27], v[28:29], s[16:17], v[26:27]
	v_add_f64 v[20:21], v[147:148], v[20:21]
	v_add_f64 v[12:13], v[165:166], v[12:13]
	;; [unrolled: 1-line block ×18, first 2 shown]
	v_mul_f64 v[137:138], v[107:108], s[36:37]
	v_mul_f64 v[131:132], v[107:108], s[28:29]
	;; [unrolled: 1-line block ×3, first 2 shown]
	v_fma_f64 v[147:148], v[105:106], s[20:21], -v[181:182]
	v_fma_f64 v[149:150], v[105:106], s[20:21], v[181:182]
	v_fma_f64 v[151:152], v[105:106], s[12:13], -v[14:15]
	v_fma_f64 v[14:15], v[105:106], s[12:13], v[14:15]
	;; [unrolled: 2-line block ×5, first 2 shown]
	v_fma_f64 v[173:174], v[105:106], s[22:23], v[145:146]
	v_fma_f64 v[145:146], v[105:106], s[22:23], -v[145:146]
	v_fma_f64 v[175:176], v[105:106], s[18:19], -v[18:19]
	v_fma_f64 v[18:19], v[105:106], s[18:19], v[18:19]
	v_fma_f64 v[181:182], v[105:106], s[10:11], -v[101:102]
	v_fma_f64 v[101:102], v[105:106], s[10:11], v[101:102]
	v_mul_f64 v[153:154], v[107:108], s[38:39]
	v_add_f64 v[20:21], v[157:158], v[20:21]
	v_add_f64 v[12:13], v[125:126], v[12:13]
	;; [unrolled: 1-line block ×3, first 2 shown]
	v_mul_f64 v[155:156], v[107:108], s[40:41]
	v_add_f64 v[105:106], v[127:128], v[111:112]
	v_add_f64 v[111:112], v[193:194], v[113:114]
	;; [unrolled: 1-line block ×3, first 2 shown]
	v_mul_f64 v[22:23], v[107:108], s[24:25]
	v_mul_f64 v[129:130], v[107:108], s[26:27]
	v_add_f64 v[113:114], v[135:136], v[115:116]
	v_add_f64 v[8:9], v[167:168], v[8:9]
	v_add_f64 v[6:7], v[159:160], v[6:7]
	v_add_f64 v[24:25], v[161:162], v[24:25]
	v_mul_f64 v[107:108], v[107:108], s[34:35]
	v_add_f64 v[115:116], v[183:184], v[117:118]
	v_add_f64 v[117:118], v[185:186], v[123:124]
	;; [unrolled: 1-line block ×7, first 2 shown]
	v_fma_f64 v[26:27], v[109:110], s[22:23], -v[137:138]
	v_fma_f64 v[157:158], v[109:110], s[10:11], v[131:132]
	v_fma_f64 v[159:160], v[109:110], s[14:15], -v[133:134]
	v_fma_f64 v[133:134], v[109:110], s[14:15], v[133:134]
	v_fma_f64 v[123:124], v[109:110], s[22:23], v[137:138]
	v_fma_f64 v[131:132], v[109:110], s[10:11], -v[131:132]
	v_mul_u32_u24_e32 v103, 0x198, v93
	s_delay_alu instid0(VALU_DEP_1)
	v_add3_u32 v103, 0, v103, v100
	v_fma_f64 v[125:126], v[109:110], s[20:21], -v[153:154]
	v_add_f64 v[20:21], v[147:148], v[20:21]
	v_add_f64 v[12:13], v[14:15], v[12:13]
	;; [unrolled: 1-line block ×3, first 2 shown]
	v_fma_f64 v[127:128], v[109:110], s[20:21], v[153:154]
	v_add_f64 v[28:29], v[141:142], v[105:106]
	v_add_f64 v[105:106], v[173:174], v[111:112]
	;; [unrolled: 1-line block ×3, first 2 shown]
	v_fma_f64 v[135:136], v[109:110], s[18:19], -v[155:156]
	v_fma_f64 v[137:138], v[109:110], s[18:19], v[155:156]
	v_fma_f64 v[153:154], v[109:110], s[16:17], -v[22:23]
	v_fma_f64 v[22:23], v[109:110], s[16:17], v[22:23]
	;; [unrolled: 2-line block ×3, first 2 shown]
	v_add_f64 v[18:19], v[143:144], v[113:114]
	v_add_f64 v[8:9], v[139:140], v[8:9]
	;; [unrolled: 1-line block ×5, first 2 shown]
	v_fma_f64 v[161:162], v[109:110], s[4:5], -v[107:108]
	v_fma_f64 v[107:108], v[109:110], s[4:5], v[107:108]
	v_add_f64 v[109:110], v[169:170], v[115:116]
	v_add_f64 v[111:112], v[171:172], v[117:118]
	;; [unrolled: 1-line block ×24, first 2 shown]
	s_delay_alu instid0(VALU_DEP_1) | instskip(NEXT) | instid1(VALU_DEP_1)
	v_add_f64 v[2:3], v[2:3], v[86:87]
	v_add_f64 v[2:3], v[2:3], v[46:47]
	s_delay_alu instid0(VALU_DEP_1)
	v_add_f64 v[2:3], v[2:3], v[48:49]
	ds_store_2addr_b64 v103, v[16:17], v[26:27] offset0:6 offset1:9
	ds_store_2addr_b64 v103, v[18:19], v[22:23] offset0:12 offset1:15
	;; [unrolled: 1-line block ×7, first 2 shown]
	ds_store_2addr_b64 v103, v[2:3], v[10:11] offset1:3
	ds_store_b64 v103, v[4:5] offset:384
.LBB0_25:
	s_or_b32 exec_lo, exec_lo, s1
	v_add_nc_u32_e32 v101, 0x800, v104
	v_add_nc_u32_e32 v102, 0xc00, v104
	;; [unrolled: 1-line block ×3, first 2 shown]
	s_waitcnt lgkmcnt(0)
	s_barrier
	buffer_gl0_inv
	ds_load_2addr_b64 v[2:5], v104 offset1:51
	ds_load_2addr_b64 v[14:17], v104 offset0:102 offset1:153
	ds_load_2addr_b64 v[18:21], v104 offset0:204 offset1:255
	ds_load_2addr_b64 v[10:13], v101 offset0:50 offset1:101
	ds_load_2addr_b64 v[6:9], v101 offset0:152 offset1:203
	ds_load_2addr_b64 v[22:25], v102 offset0:126 offset1:177
	ds_load_2addr_b64 v[26:29], v103 offset0:100 offset1:151
	s_waitcnt lgkmcnt(0)
	s_barrier
	buffer_gl0_inv
	s_and_saveexec_b32 s33, s0
	s_cbranch_execz .LBB0_27
; %bb.26:
	v_add_f64 v[105:106], v[0:1], v[98:99]
	v_add_f64 v[98:99], v[98:99], v[30:31]
	v_add_f64 v[48:49], v[96:97], -v[48:49]
	s_mov_b32 s38, 0x370991
	s_mov_b32 s24, 0x75d4884
	s_mov_b32 s28, 0x2b2883cd
	s_mov_b32 s39, 0x3fedd6d0
	s_mov_b32 s25, 0x3fe7a5f6
	s_mov_b32 s29, 0x3fdc86fa
	s_mov_b32 s30, 0x3259b75e
	s_mov_b32 s40, 0xc61f0d01
	s_mov_b32 s31, 0x3fb79ee6
	s_mov_b32 s41, 0xbfd183b1
	s_mov_b32 s42, 0x6ed5f1bb
	s_mov_b32 s52, 0x910ea3b9
	s_mov_b32 s43, 0xbfe348c8
	s_mov_b32 s53, 0xbfeb34fa
	s_mov_b32 s54, 0x7faef3
	v_add_f64 v[74:75], v[74:75], -v[78:79]
	v_add_f64 v[68:69], v[68:69], -v[72:73]
	;; [unrolled: 1-line block ×3, first 2 shown]
	s_mov_b32 s55, 0xbfef7484
	v_add_f64 v[46:47], v[80:81], -v[46:47]
	v_add_f64 v[80:81], v[82:83], -v[86:87]
	;; [unrolled: 1-line block ×3, first 2 shown]
	v_add_f64 v[64:65], v[56:57], v[42:43]
	s_mov_b32 s0, 0x5d8e7cdc
	s_mov_b32 s10, 0x2a9d6da3
	;; [unrolled: 1-line block ×12, first 2 shown]
	v_add_f64 v[105:106], v[105:106], v[88:89]
	v_add_f64 v[88:89], v[88:89], v[32:33]
	v_mul_f64 v[58:59], v[98:99], s[38:39]
	v_mul_f64 v[72:73], v[98:99], s[24:25]
	;; [unrolled: 1-line block ×6, first 2 shown]
	s_mov_b32 s23, 0x3feec746
	s_mov_b32 s34, 0x6c9a05f6
	;; [unrolled: 1-line block ×20, first 2 shown]
	v_add_f64 v[54:55], v[62:63], -v[54:55]
	v_add_f64 v[62:63], v[50:51], v[44:45]
	v_add_f64 v[105:106], v[105:106], v[84:85]
	;; [unrolled: 1-line block ×3, first 2 shown]
	v_mul_f64 v[109:110], v[88:89], s[24:25]
	v_mul_f64 v[111:112], v[88:89], s[30:31]
	;; [unrolled: 1-line block ×6, first 2 shown]
	v_fma_f64 v[153:154], v[48:49], s[0:1], v[58:59]
	v_fma_f64 v[155:156], v[48:49], s[10:11], v[72:73]
	;; [unrolled: 1-line block ×11, first 2 shown]
	v_add_f64 v[105:106], v[105:106], v[76:77]
	v_add_f64 v[76:77], v[76:77], v[36:37]
	v_mul_f64 v[121:122], v[84:85], s[28:29]
	v_mul_f64 v[123:124], v[84:85], s[42:43]
	;; [unrolled: 1-line block ×8, first 2 shown]
	v_fma_f64 v[175:176], v[46:47], s[10:11], v[109:110]
	v_fma_f64 v[109:110], v[46:47], s[12:13], v[109:110]
	;; [unrolled: 1-line block ×12, first 2 shown]
	v_add_f64 v[72:73], v[0:1], v[72:73]
	v_add_f64 v[82:83], v[0:1], v[82:83]
	;; [unrolled: 1-line block ×7, first 2 shown]
	v_mul_f64 v[135:136], v[76:77], s[30:31]
	v_mul_f64 v[137:138], v[76:77], s[54:55]
	;; [unrolled: 1-line block ×8, first 2 shown]
	v_fma_f64 v[193:194], v[80:81], s[14:15], v[121:122]
	v_fma_f64 v[121:122], v[80:81], s[16:17], v[121:122]
	;; [unrolled: 1-line block ×16, first 2 shown]
	v_add_f64 v[72:73], v[111:112], v[72:73]
	v_add_f64 v[82:83], v[115:116], v[82:83]
	;; [unrolled: 1-line block ×4, first 2 shown]
	v_mul_f64 v[105:106], v[98:99], s[42:43]
	v_mul_f64 v[98:99], v[98:99], s[54:55]
	v_add_f64 v[66:67], v[66:67], v[40:41]
	v_mul_f64 v[149:150], v[70:71], s[40:41]
	v_mul_f64 v[151:152], v[70:71], s[52:53]
	;; [unrolled: 1-line block ×5, first 2 shown]
	v_fma_f64 v[113:114], v[74:75], s[18:19], v[135:136]
	v_add_f64 v[72:73], v[123:124], v[72:73]
	v_add_f64 v[82:83], v[127:128], v[82:83]
	;; [unrolled: 1-line block ×3, first 2 shown]
	v_mul_f64 v[125:126], v[64:65], s[38:39]
	v_add_f64 v[56:57], v[96:97], v[56:57]
	v_mul_f64 v[96:97], v[88:89], s[52:53]
	v_mul_f64 v[88:89], v[88:89], s[38:39]
	v_fma_f64 v[163:164], v[48:49], s[34:35], v[105:106]
	v_fma_f64 v[105:106], v[48:49], s[36:37], v[105:106]
	;; [unrolled: 1-line block ×5, first 2 shown]
	v_mul_f64 v[58:59], v[70:71], s[28:29]
	v_mul_f64 v[191:192], v[66:67], s[52:53]
	v_add_f64 v[50:51], v[56:57], v[50:51]
	v_fma_f64 v[183:184], v[46:47], s[46:47], v[96:97]
	v_fma_f64 v[96:97], v[46:47], s[44:45], v[96:97]
	;; [unrolled: 1-line block ×4, first 2 shown]
	v_add_f64 v[88:89], v[0:1], v[153:154]
	v_add_f64 v[153:154], v[0:1], v[155:156]
	;; [unrolled: 1-line block ×11, first 2 shown]
	v_mul_f64 v[56:57], v[70:71], s[24:25]
	v_mul_f64 v[48:49], v[70:71], s[42:43]
	;; [unrolled: 1-line block ×4, first 2 shown]
	v_add_f64 v[44:45], v[50:51], v[44:45]
	v_mul_f64 v[50:51], v[66:67], s[42:43]
	v_add_f64 v[86:87], v[96:97], v[86:87]
	v_mul_f64 v[96:97], v[66:67], s[24:25]
	v_add_f64 v[84:85], v[175:176], v[88:89]
	v_add_f64 v[88:89], v[177:178], v[153:154]
	;; [unrolled: 1-line block ×12, first 2 shown]
	v_fma_f64 v[119:120], v[74:75], s[20:21], v[135:136]
	v_fma_f64 v[135:136], v[74:75], s[48:49], v[137:138]
	;; [unrolled: 1-line block ×15, first 2 shown]
	v_mul_f64 v[107:108], v[66:67], s[54:55]
	v_fma_f64 v[179:180], v[68:69], s[20:21], v[171:172]
	v_fma_f64 v[171:172], v[68:69], s[18:19], v[171:172]
	;; [unrolled: 1-line block ×5, first 2 shown]
	v_add_f64 v[42:43], v[44:45], v[42:43]
	v_mul_f64 v[44:45], v[66:67], s[30:31]
	v_add_f64 v[86:87], v[129:130], v[86:87]
	v_mul_f64 v[66:67], v[66:67], s[28:29]
	v_fma_f64 v[48:49], v[68:69], s[36:37], v[48:49]
	v_add_f64 v[76:77], v[193:194], v[84:85]
	v_add_f64 v[84:85], v[195:196], v[88:89]
	;; [unrolled: 1-line block ×12, first 2 shown]
	v_fma_f64 v[131:132], v[68:69], s[22:23], v[149:150]
	v_fma_f64 v[133:134], v[68:69], s[26:27], v[149:150]
	;; [unrolled: 1-line block ×10, first 2 shown]
	v_add_f64 v[72:73], v[137:138], v[72:73]
	v_add_f64 v[82:83], v[141:142], v[82:83]
	v_add_f64 v[78:79], v[139:140], v[78:79]
	v_mul_f64 v[109:110], v[64:65], s[52:53]
	v_mul_f64 v[98:99], v[64:65], s[30:31]
	;; [unrolled: 1-line block ×4, first 2 shown]
	v_fma_f64 v[137:138], v[60:61], s[0:1], v[167:168]
	v_fma_f64 v[139:140], v[60:61], s[4:5], v[167:168]
	;; [unrolled: 1-line block ×3, first 2 shown]
	v_add_f64 v[40:41], v[42:43], v[40:41]
	v_mul_f64 v[42:43], v[64:65], s[28:29]
	v_add_f64 v[68:69], v[113:114], v[76:77]
	v_add_f64 v[76:77], v[135:136], v[84:85]
	;; [unrolled: 1-line block ×13, first 2 shown]
	v_fma_f64 v[127:128], v[60:61], s[34:35], v[50:51]
	v_fma_f64 v[50:51], v[60:61], s[36:37], v[50:51]
	;; [unrolled: 1-line block ×13, first 2 shown]
	v_add_f64 v[72:73], v[151:152], v[72:73]
	v_add_f64 v[58:59], v[58:59], v[82:83]
	;; [unrolled: 1-line block ×3, first 2 shown]
	v_mul_f64 v[86:87], v[62:63], s[54:55]
	v_mul_f64 v[119:120], v[62:63], s[38:39]
	;; [unrolled: 1-line block ×4, first 2 shown]
	v_add_f64 v[38:39], v[40:41], v[38:39]
	v_mul_f64 v[40:41], v[64:65], s[24:25]
	v_mul_f64 v[64:65], v[64:65], s[40:41]
	v_fma_f64 v[151:152], v[54:55], s[0:1], v[125:126]
	v_fma_f64 v[125:126], v[54:55], s[4:5], v[125:126]
	v_add_f64 v[66:67], v[131:132], v[68:69]
	v_add_f64 v[68:69], v[149:150], v[76:77]
	;; [unrolled: 1-line block ×13, first 2 shown]
	v_mul_f64 v[80:81], v[62:63], s[28:29]
	v_mul_f64 v[115:116], v[62:63], s[40:41]
	v_fma_f64 v[117:118], v[54:55], s[44:45], v[109:110]
	v_fma_f64 v[109:110], v[54:55], s[46:47], v[109:110]
	;; [unrolled: 1-line block ×10, first 2 shown]
	v_add_f64 v[58:59], v[143:144], v[58:59]
	v_add_f64 v[56:57], v[139:140], v[56:57]
	;; [unrolled: 1-line block ×3, first 2 shown]
	v_mul_f64 v[38:39], v[62:63], s[24:25]
	v_mul_f64 v[62:63], v[62:63], s[30:31]
	v_fma_f64 v[155:156], v[54:55], s[12:13], v[40:41]
	v_fma_f64 v[40:41], v[54:55], s[10:11], v[40:41]
	;; [unrolled: 1-line block ×4, first 2 shown]
	v_add_f64 v[64:65], v[127:128], v[66:67]
	v_add_f64 v[66:67], v[135:136], v[68:69]
	;; [unrolled: 1-line block ×14, first 2 shown]
	v_fma_f64 v[50:51], v[52:53], s[50:51], v[86:87]
	v_fma_f64 v[60:61], v[52:53], s[4:5], v[119:120]
	;; [unrolled: 1-line block ×10, first 2 shown]
	v_add_f64 v[58:59], v[121:122], v[58:59]
	v_add_f64 v[34:35], v[36:37], v[34:35]
	v_fma_f64 v[36:37], v[52:53], s[48:49], v[86:87]
	v_fma_f64 v[86:87], v[52:53], s[44:45], v[123:124]
	;; [unrolled: 1-line block ×6, first 2 shown]
	v_add_f64 v[62:63], v[117:118], v[64:65]
	v_add_f64 v[64:65], v[131:132], v[66:67]
	;; [unrolled: 1-line block ×33, first 2 shown]
	v_mul_u32_u24_e32 v32, 0x198, v93
	s_delay_alu instid0(VALU_DEP_1)
	v_add3_u32 v32, 0, v32, v100
	ds_store_2addr_b64 v32, v[36:37], v[54:55] offset0:6 offset1:9
	ds_store_2addr_b64 v32, v[56:57], v[58:59] offset0:12 offset1:15
	;; [unrolled: 1-line block ×7, first 2 shown]
	ds_store_2addr_b64 v32, v[30:31], v[34:35] offset1:3
	ds_store_b64 v32, v[0:1] offset:384
.LBB0_27:
	s_or_b32 exec_lo, exec_lo, s33
	v_mul_u32_u24_e32 v0, 6, v92
	s_waitcnt lgkmcnt(0)
	s_barrier
	buffer_gl0_inv
	s_mov_b32 s0, 0x37e14327
	v_lshlrev_b32_e32 v0, 4, v0
	s_mov_b32 s10, 0xe976ee23
	s_mov_b32 s1, 0x3fe948f6
	;; [unrolled: 1-line block ×4, first 2 shown]
	s_clause 0x5
	global_load_b128 v[30:33], v0, s[8:9] offset:768
	global_load_b128 v[34:37], v0, s[8:9] offset:784
	;; [unrolled: 1-line block ×6, first 2 shown]
	ds_load_2addr_b64 v[54:57], v104 offset0:102 offset1:153
	ds_load_2addr_b64 v[58:61], v104 offset0:204 offset1:255
	;; [unrolled: 1-line block ×6, first 2 shown]
	s_mov_b32 s12, 0x429ad128
	s_mov_b32 s5, 0x3fac98ee
	s_mov_b32 s13, 0xbfebfeb5
	s_mov_b32 s14, 0xaaaaaaaa
	s_mov_b32 s20, 0xb247c609
	s_mov_b32 s15, 0xbff2aaaa
	s_mov_b32 s16, 0x5476071b
	s_mov_b32 s21, 0xbfd5d0dc
	s_mov_b32 s17, 0x3fe77f67
	s_mov_b32 s19, 0xbfe77f67
	s_mov_b32 s23, 0x3fd5d0dc
	s_mov_b32 s18, s16
	s_mov_b32 s22, s20
	s_waitcnt vmcnt(5) lgkmcnt(5)
	v_mul_f64 v[0:1], v[54:55], v[32:33]
	s_waitcnt vmcnt(4) lgkmcnt(4)
	v_mul_f64 v[78:79], v[58:59], v[36:37]
	;; [unrolled: 2-line block ×4, first 2 shown]
	v_mul_f64 v[84:85], v[56:57], v[32:33]
	v_mul_f64 v[86:87], v[60:61], v[36:37]
	;; [unrolled: 1-line block ×12, first 2 shown]
	s_waitcnt vmcnt(1) lgkmcnt(1)
	v_mul_f64 v[107:108], v[70:71], v[48:49]
	v_mul_f64 v[109:110], v[10:11], v[48:49]
	s_waitcnt vmcnt(0) lgkmcnt(0)
	v_mul_f64 v[115:116], v[74:75], v[52:53]
	v_mul_f64 v[117:118], v[6:7], v[52:53]
	;; [unrolled: 1-line block ×4, first 2 shown]
	v_fma_f64 v[0:1], v[14:15], v[30:31], v[0:1]
	v_fma_f64 v[14:15], v[18:19], v[34:35], v[78:79]
	v_fma_f64 v[18:19], v[26:27], v[38:39], v[80:81]
	v_fma_f64 v[22:23], v[22:23], v[42:43], v[82:83]
	v_mul_f64 v[26:27], v[76:77], v[52:53]
	v_mul_f64 v[52:53], v[8:9], v[52:53]
	v_fma_f64 v[16:17], v[16:17], v[30:31], v[84:85]
	v_fma_f64 v[20:21], v[20:21], v[34:35], v[86:87]
	v_fma_f64 v[28:29], v[28:29], v[38:39], v[88:89]
	v_fma_f64 v[24:25], v[24:25], v[42:43], v[96:97]
	v_fma_f64 v[54:55], v[54:55], v[30:31], -v[98:99]
	v_fma_f64 v[58:59], v[58:59], v[34:35], -v[105:106]
	;; [unrolled: 1-line block ×8, first 2 shown]
	v_fma_f64 v[10:11], v[10:11], v[46:47], v[107:108]
	v_fma_f64 v[70:71], v[70:71], v[46:47], -v[109:110]
	v_fma_f64 v[6:7], v[6:7], v[50:51], v[115:116]
	v_fma_f64 v[38:39], v[74:75], v[50:51], -v[117:118]
	;; [unrolled: 2-line block ×3, first 2 shown]
	v_add_f64 v[42:43], v[0:1], v[18:19]
	v_add_f64 v[44:45], v[14:15], v[22:23]
	v_fma_f64 v[8:9], v[8:9], v[50:51], v[26:27]
	v_fma_f64 v[26:27], v[76:77], v[50:51], -v[52:53]
	v_add_f64 v[14:15], v[14:15], -v[22:23]
	v_add_f64 v[0:1], v[0:1], -v[18:19]
	v_add_f64 v[46:47], v[16:17], v[28:29]
	v_add_f64 v[48:49], v[20:21], v[24:25]
	v_add_f64 v[20:21], v[20:21], -v[24:25]
	v_add_f64 v[16:17], v[16:17], -v[28:29]
	v_add_f64 v[50:51], v[54:55], v[62:63]
	v_add_f64 v[52:53], v[58:59], v[66:67]
	;; [unrolled: 4-line block ×3, first 2 shown]
	v_add_f64 v[32:33], v[32:33], -v[36:37]
	v_add_f64 v[30:31], v[30:31], -v[34:35]
	v_add_f64 v[64:65], v[10:11], v[6:7]
	v_add_f64 v[66:67], v[38:39], -v[70:71]
	v_add_f64 v[38:39], v[70:71], v[38:39]
	;; [unrolled: 2-line block ×3, first 2 shown]
	v_add_f64 v[62:63], v[12:13], v[8:9]
	v_add_f64 v[68:69], v[26:27], -v[40:41]
	v_add_f64 v[22:23], v[40:41], v[26:27]
	v_add_f64 v[12:13], v[8:9], -v[12:13]
	v_add_f64 v[80:81], v[14:15], -v[0:1]
	v_add_f64 v[34:35], v[48:49], v[46:47]
	ds_load_2addr_b64 v[6:9], v104 offset1:51
	v_add_f64 v[86:87], v[20:21], -v[16:17]
	s_waitcnt lgkmcnt(0)
	v_add_f64 v[18:19], v[52:53], v[50:51]
	s_barrier
	v_add_f64 v[70:71], v[58:59], -v[54:55]
	buffer_gl0_inv
	v_add_f64 v[24:25], v[60:61], v[56:57]
	v_add_f64 v[74:75], v[32:33], -v[30:31]
	v_add_f64 v[26:27], v[42:43], -v[64:65]
	;; [unrolled: 1-line block ×7, first 2 shown]
	v_add_f64 v[58:59], v[66:67], v[58:59]
	v_add_f64 v[78:79], v[10:11], -v[14:15]
	v_add_f64 v[66:67], v[54:55], -v[66:67]
	v_add_f64 v[50:51], v[52:53], -v[50:51]
	v_add_f64 v[14:15], v[10:11], v[14:15]
	v_add_f64 v[10:11], v[0:1], -v[10:11]
	v_add_f64 v[52:53], v[60:61], -v[56:57]
	v_add_f64 v[36:37], v[64:65], v[36:37]
	v_add_f64 v[64:65], v[46:47], -v[62:63]
	v_add_f64 v[72:73], v[68:69], -v[32:33]
	;; [unrolled: 3-line block ×4, first 2 shown]
	v_add_f64 v[46:47], v[48:49], -v[46:47]
	v_add_f64 v[18:19], v[38:39], v[18:19]
	v_add_f64 v[38:39], v[56:57], -v[22:23]
	v_mul_f64 v[88:89], v[70:71], s[12:13]
	v_add_f64 v[20:21], v[12:13], v[20:21]
	v_add_f64 v[22:23], v[22:23], v[24:25]
	v_add_f64 v[12:13], v[16:17], -v[12:13]
	v_mul_f64 v[96:97], v[74:75], s[12:13]
	v_mul_f64 v[24:25], v[26:27], s[0:1]
	;; [unrolled: 1-line block ×6, first 2 shown]
	v_add_f64 v[54:55], v[58:59], v[54:55]
	v_mul_f64 v[60:61], v[78:79], s[10:11]
	v_mul_f64 v[58:59], v[80:81], s[12:13]
	v_add_f64 v[0:1], v[14:15], v[0:1]
	v_add_f64 v[2:3], v[2:3], v[36:37]
	v_mul_f64 v[64:65], v[64:65], s[0:1]
	v_mul_f64 v[72:73], v[72:73], s[10:11]
	v_add_f64 v[4:5], v[4:5], v[34:35]
	v_mul_f64 v[48:49], v[62:63], s[4:5]
	v_add_f64 v[78:79], v[6:7], v[18:19]
	v_add_f64 v[6:7], v[32:33], v[30:31]
	v_mul_f64 v[30:31], v[38:39], s[0:1]
	v_mul_f64 v[32:33], v[82:83], s[10:11]
	v_mul_f64 v[82:83], v[86:87], s[12:13]
	v_add_f64 v[98:99], v[8:9], v[22:23]
	v_mul_f64 v[38:39], v[84:85], s[4:5]
	v_fma_f64 v[8:9], v[28:29], s[4:5], v[24:25]
	v_fma_f64 v[28:29], v[66:67], s[20:21], v[40:41]
	v_fma_f64 v[26:27], v[42:43], s[16:17], -v[26:27]
	v_fma_f64 v[40:41], v[70:71], s[12:13], -v[40:41]
	;; [unrolled: 1-line block ×4, first 2 shown]
	v_add_f64 v[14:15], v[20:21], v[16:17]
	v_fma_f64 v[16:17], v[76:77], s[4:5], v[44:45]
	v_fma_f64 v[20:21], v[50:51], s[16:17], -v[56:57]
	v_fma_f64 v[56:57], v[80:81], s[12:13], -v[60:61]
	;; [unrolled: 1-line block ×3, first 2 shown]
	s_mov_b32 s0, 0x37c3f68c
	s_mov_b32 s1, 0xbfdc38aa
	v_fma_f64 v[36:37], v[36:37], s[14:15], v[2:3]
	v_fma_f64 v[42:43], v[62:63], s[4:5], v[64:65]
	;; [unrolled: 1-line block ×3, first 2 shown]
	v_fma_f64 v[70:71], v[74:75], s[12:13], -v[72:73]
	v_fma_f64 v[68:69], v[68:69], s[22:23], -v[96:97]
	;; [unrolled: 1-line block ×3, first 2 shown]
	v_fma_f64 v[34:35], v[34:35], s[14:15], v[4:5]
	v_fma_f64 v[46:47], v[46:47], s[16:17], -v[48:49]
	v_fma_f64 v[48:49], v[10:11], s[20:21], v[60:61]
	v_fma_f64 v[10:11], v[10:11], s[22:23], -v[58:59]
	v_fma_f64 v[18:19], v[18:19], s[14:15], v[78:79]
	v_fma_f64 v[50:51], v[84:85], s[4:5], v[30:31]
	;; [unrolled: 1-line block ×3, first 2 shown]
	v_fma_f64 v[32:33], v[86:87], s[12:13], -v[32:33]
	v_fma_f64 v[12:13], v[12:13], s[22:23], -v[82:83]
	v_fma_f64 v[22:23], v[22:23], s[14:15], v[98:99]
	v_fma_f64 v[30:31], v[52:53], s[18:19], -v[30:31]
	v_fma_f64 v[38:39], v[52:53], s[16:17], -v[38:39]
	v_fma_f64 v[28:29], v[54:55], s[0:1], v[28:29]
	v_fma_f64 v[40:41], v[54:55], s[0:1], v[40:41]
	v_fma_f64 v[52:53], v[54:55], s[0:1], v[66:67]
	v_add_f64 v[8:9], v[8:9], v[36:37]
	v_add_f64 v[24:25], v[24:25], v[36:37]
	v_add_f64 v[26:27], v[26:27], v[36:37]
	v_fma_f64 v[36:37], v[6:7], s[0:1], v[62:63]
	v_fma_f64 v[54:55], v[6:7], s[0:1], v[70:71]
	v_fma_f64 v[6:7], v[6:7], s[0:1], v[68:69]
	v_add_f64 v[42:43], v[42:43], v[34:35]
	v_add_f64 v[60:61], v[64:65], v[34:35]
	v_add_f64 v[34:35], v[46:47], v[34:35]
	;; [unrolled: 6-line block ×4, first 2 shown]
	v_add_f64 v[38:39], v[28:29], v[8:9]
	v_add_f64 v[44:45], v[52:53], v[24:25]
	v_add_f64 v[50:51], v[26:27], -v[40:41]
	v_add_f64 v[26:27], v[40:41], v[26:27]
	v_add_f64 v[24:25], v[24:25], -v[52:53]
	v_add_f64 v[8:9], v[8:9], -v[28:29]
	v_add_f64 v[28:29], v[36:37], v[42:43]
	v_add_f64 v[40:41], v[6:7], v[60:61]
	v_add_f64 v[52:53], v[34:35], -v[54:55]
	v_add_f64 v[34:35], v[54:55], v[34:35]
	v_add_f64 v[6:7], v[60:61], -v[6:7]
	v_add_f64 v[36:37], v[42:43], -v[36:37]
	;; [unrolled: 1-line block ×4, first 2 shown]
	v_add_f64 v[56:57], v[48:49], v[18:19]
	v_add_f64 v[48:49], v[18:19], -v[48:49]
	v_add_f64 v[58:59], v[0:1], v[16:17]
	v_add_f64 v[46:47], v[46:47], v[10:11]
	v_add_f64 v[60:61], v[14:15], -v[20:21]
	v_add_f64 v[62:63], v[30:31], -v[12:13]
	v_add_f64 v[64:65], v[32:33], v[22:23]
	v_add_f64 v[32:33], v[22:23], -v[32:33]
	v_add_f64 v[30:31], v[12:13], v[30:31]
	v_add_f64 v[66:67], v[20:21], v[14:15]
	ds_store_2addr_b64 v104, v[2:3], v[38:39] offset1:51
	ds_store_2addr_b64 v104, v[44:45], v[50:51] offset0:102 offset1:153
	ds_store_2addr_b64 v104, v[26:27], v[24:25] offset0:204 offset1:255
	;; [unrolled: 1-line block ×6, first 2 shown]
	s_waitcnt lgkmcnt(0)
	s_barrier
	buffer_gl0_inv
	ds_load_2addr_b64 v[12:15], v104 offset1:51
	ds_load_2addr_b64 v[0:3], v101 offset0:50 offset1:101
	ds_load_2addr_b64 v[24:27], v101 offset0:152 offset1:203
	;; [unrolled: 1-line block ×6, first 2 shown]
	s_waitcnt lgkmcnt(0)
	s_barrier
	buffer_gl0_inv
	ds_store_2addr_b64 v104, v[78:79], v[42:43] offset1:51
	ds_store_2addr_b64 v104, v[54:55], v[56:57] offset0:102 offset1:153
	ds_store_2addr_b64 v104, v[48:49], v[58:59] offset0:204 offset1:255
	;; [unrolled: 1-line block ×6, first 2 shown]
	s_waitcnt lgkmcnt(0)
	s_barrier
	buffer_gl0_inv
	s_and_saveexec_b32 s0, vcc_lo
	s_cbranch_execz .LBB0_29
; %bb.28:
	v_dual_mov_b32 v29, 0 :: v_dual_add_nc_u32 v28, 0x132, v92
	v_add_nc_u32_e32 v74, 0x1000, v104
	v_add_nc_u32_e32 v78, 0xc00, v104
	v_mad_u64_u32 v[86:87], null, s2, v94, 0
	s_delay_alu instid0(VALU_DEP_4) | instskip(SKIP_3) | instid1(VALU_DEP_4)
	v_dual_mov_b32 v93, v29 :: v_dual_add_nc_u32 v82, 0x800, v104
	v_lshlrev_b64 v[32:33], 4, v[28:29]
	v_add_nc_u32_e32 v105, 0x66, v92
	v_add_nc_u32_e32 v107, 0xcc, v92
	v_lshlrev_b64 v[30:31], 4, v[92:93]
	v_mul_lo_u32 v93, s2, v95
	v_add_nc_u32_e32 v108, 0xff, v92
	v_add_nc_u32_e32 v106, 0x99, v92
	v_lshlrev_b64 v[88:89], 4, v[90:91]
	v_mul_hi_u32 v91, 0x16f26017, v105
	v_add_co_u32 v28, vcc_lo, s8, v30
	v_add_co_ci_u32_e32 v30, vcc_lo, s9, v31, vcc_lo
	v_add_co_u32 v46, vcc_lo, s8, v32
	v_add_co_ci_u32_e32 v47, vcc_lo, s9, v33, vcc_lo
	s_delay_alu instid0(VALU_DEP_4) | instskip(NEXT) | instid1(VALU_DEP_4)
	v_add_co_u32 v42, vcc_lo, 0x1000, v28
	v_add_co_ci_u32_e32 v43, vcc_lo, 0, v30, vcc_lo
	v_add_co_u32 v50, vcc_lo, 0x2000, v28
	v_add_co_ci_u32_e32 v51, vcc_lo, 0, v30, vcc_lo
	s_clause 0x3
	global_load_b128 v[30:33], v[42:43], off offset:1568
	global_load_b128 v[34:37], v[42:43], off offset:3200
	;; [unrolled: 1-line block ×4, first 2 shown]
	v_add_co_u32 v54, vcc_lo, 0x1000, v46
	v_add_co_ci_u32_e32 v55, vcc_lo, 0, v47, vcc_lo
	s_clause 0x2
	global_load_b128 v[46:49], v[50:51], off offset:736
	global_load_b128 v[50:53], v[50:51], off offset:1552
	;; [unrolled: 1-line block ×3, first 2 shown]
	ds_load_2addr_b64 v[58:61], v104 offset0:204 offset1:255
	ds_load_2addr_b64 v[62:65], v104 offset0:102 offset1:153
	ds_load_2addr_b64 v[66:69], v104 offset1:51
	ds_load_2addr_b64 v[70:73], v82 offset0:50 offset1:101
	ds_load_2addr_b64 v[74:77], v74 offset0:100 offset1:151
	;; [unrolled: 1-line block ×4, first 2 shown]
	v_mul_lo_u32 v28, s3, v94
	v_mul_hi_u32 v94, 0x16f26017, v92
	v_add_nc_u32_e32 v104, 51, v92
	v_add_nc_u32_e32 v109, 0x132, v92
	v_mul_hi_u32 v95, 0x16f26017, v106
	v_lshrrev_b32_e32 v111, 5, v91
	s_delay_alu instid0(VALU_DEP_4)
	v_mul_hi_u32 v90, 0x16f26017, v104
	v_add3_u32 v87, v87, v93, v28
	v_lshrrev_b32_e32 v94, 5, v94
	v_mul_hi_u32 v28, 0x16f26017, v107
	v_mul_hi_u32 v93, 0x16f26017, v108
	v_mul_hi_u32 v96, 0x16f26017, v109
	v_lshrrev_b32_e32 v112, 5, v95
	v_mul_u32_u24_e32 v94, 0x165, v94
	v_lshrrev_b32_e32 v110, 5, v90
	v_lshlrev_b64 v[86:87], 4, v[86:87]
	v_mul_u32_u24_e32 v117, 0x165, v111
	v_lshrrev_b32_e32 v113, 5, v28
	v_lshrrev_b32_e32 v114, 5, v93
	v_sub_nc_u32_e32 v28, v92, v94
	v_lshrrev_b32_e32 v115, 5, v96
	v_mul_u32_u24_e32 v116, 0x165, v110
	v_mul_u32_u24_e32 v118, 0x165, v112
	;; [unrolled: 1-line block ×3, first 2 shown]
	v_lshlrev_b32_e32 v122, 4, v28
	v_mul_u32_u24_e32 v120, 0x165, v114
	v_sub_nc_u32_e32 v28, v104, v116
	v_mul_u32_u24_e32 v121, 0x165, v115
	v_add_co_u32 v86, vcc_lo, s6, v86
	v_add_co_ci_u32_e32 v87, vcc_lo, s7, v87, vcc_lo
	s_delay_alu instid0(VALU_DEP_4)
	v_mad_u32_u24 v28, 0x2ca, v110, v28
	v_sub_nc_u32_e32 v104, v105, v117
	v_sub_nc_u32_e32 v105, v106, v118
	;; [unrolled: 1-line block ×5, first 2 shown]
	v_add_co_u32 v109, vcc_lo, v86, v88
	v_add_co_ci_u32_e32 v116, vcc_lo, v87, v89, vcc_lo
	v_lshlrev_b64 v[88:89], 4, v[28:29]
	v_add_nc_u32_e32 v28, 0x165, v28
	s_delay_alu instid0(VALU_DEP_4) | instskip(NEXT) | instid1(VALU_DEP_4)
	v_add_co_u32 v86, vcc_lo, v109, v122
	v_add_co_ci_u32_e32 v87, vcc_lo, 0, v116, vcc_lo
	s_waitcnt vmcnt(6)
	v_mul_f64 v[90:91], v[2:3], v[32:33]
	s_waitcnt lgkmcnt(3)
	v_mul_f64 v[32:33], v[72:73], v[32:33]
	s_waitcnt vmcnt(4)
	v_mul_f64 v[92:93], v[24:25], v[40:41]
	s_waitcnt lgkmcnt(0)
	v_mul_f64 v[40:41], v[82:83], v[40:41]
	v_mul_f64 v[94:95], v[26:27], v[36:37]
	;; [unrolled: 1-line block ×3, first 2 shown]
	s_waitcnt vmcnt(3)
	v_mul_f64 v[96:97], v[20:21], v[44:45]
	v_mul_f64 v[44:45], v[78:79], v[44:45]
	s_waitcnt vmcnt(2)
	v_mul_f64 v[98:99], v[22:23], v[48:49]
	v_mul_f64 v[48:49], v[80:81], v[48:49]
	;; [unrolled: 3-line block ×4, first 2 shown]
	v_fma_f64 v[72:73], v[72:73], v[30:31], -v[90:91]
	v_fma_f64 v[2:3], v[2:3], v[30:31], v[32:33]
	v_fma_f64 v[30:31], v[82:83], v[38:39], -v[92:93]
	v_fma_f64 v[24:25], v[24:25], v[38:39], v[40:41]
	v_fma_f64 v[32:33], v[84:85], v[34:35], -v[94:95]
	v_fma_f64 v[34:35], v[26:27], v[34:35], v[36:37]
	v_fma_f64 v[36:37], v[78:79], v[42:43], -v[96:97]
	v_fma_f64 v[38:39], v[20:21], v[42:43], v[44:45]
	v_fma_f64 v[40:41], v[80:81], v[46:47], -v[98:99]
	v_fma_f64 v[42:43], v[22:23], v[46:47], v[48:49]
	v_fma_f64 v[44:45], v[74:75], v[50:51], -v[100:101]
	v_fma_f64 v[46:47], v[16:17], v[50:51], v[52:53]
	v_fma_f64 v[48:49], v[76:77], v[54:55], -v[102:103]
	v_fma_f64 v[50:51], v[18:19], v[54:55], v[56:57]
	v_lshlrev_b64 v[16:17], 4, v[28:29]
	v_mad_u32_u24 v28, 0x2ca, v111, v104
	v_add_co_u32 v74, vcc_lo, 0x1000, v86
	v_add_co_ci_u32_e32 v75, vcc_lo, 0, v87, vcc_lo
	v_add_co_u32 v76, vcc_lo, v109, v88
	s_delay_alu instid0(VALU_DEP_4) | instskip(SKIP_3) | instid1(VALU_DEP_4)
	v_lshlrev_b64 v[18:19], 4, v[28:29]
	v_add_co_ci_u32_e32 v77, vcc_lo, v116, v89, vcc_lo
	v_add_co_u32 v78, vcc_lo, v109, v16
	v_add_co_ci_u32_e32 v79, vcc_lo, v116, v17, vcc_lo
	v_add_co_u32 v80, vcc_lo, v109, v18
	v_add_co_ci_u32_e32 v81, vcc_lo, v116, v19, vcc_lo
	v_add_nc_u32_e32 v28, 0x165, v28
	v_add_f64 v[18:19], v[66:67], -v[72:73]
	v_add_f64 v[16:17], v[12:13], -v[2:3]
	;; [unrolled: 1-line block ×14, first 2 shown]
	v_lshlrev_b64 v[52:53], 4, v[28:29]
	v_mad_u32_u24 v28, 0x2ca, v112, v105
	s_delay_alu instid0(VALU_DEP_1) | instskip(SKIP_1) | instid1(VALU_DEP_4)
	v_lshlrev_b64 v[54:55], 4, v[28:29]
	v_add_nc_u32_e32 v28, 0x165, v28
	v_add_co_u32 v72, vcc_lo, v109, v52
	v_add_co_ci_u32_e32 v73, vcc_lo, v116, v53, vcc_lo
	s_delay_alu instid0(VALU_DEP_3) | instskip(SKIP_3) | instid1(VALU_DEP_3)
	v_lshlrev_b64 v[2:3], 4, v[28:29]
	v_mad_u32_u24 v28, 0x2ca, v113, v106
	v_add_co_u32 v82, vcc_lo, v109, v54
	v_add_co_ci_u32_e32 v83, vcc_lo, v116, v55, vcc_lo
	v_lshlrev_b64 v[46:47], 4, v[28:29]
	v_add_co_u32 v84, vcc_lo, v109, v2
	v_add_co_ci_u32_e32 v85, vcc_lo, v116, v3, vcc_lo
	v_add_nc_u32_e32 v28, 0x165, v28
	s_delay_alu instid0(VALU_DEP_4)
	v_add_co_u32 v90, vcc_lo, v109, v46
	v_add_co_ci_u32_e32 v91, vcc_lo, v116, v47, vcc_lo
	v_fma_f64 v[48:49], v[66:67], 2.0, -v[18:19]
	v_fma_f64 v[46:47], v[12:13], 2.0, -v[16:17]
	v_fma_f64 v[52:53], v[68:69], 2.0, -v[22:23]
	v_fma_f64 v[50:51], v[14:15], 2.0, -v[20:21]
	v_fma_f64 v[14:15], v[62:63], 2.0, -v[26:27]
	v_fma_f64 v[12:13], v[8:9], 2.0, -v[24:25]
	v_fma_f64 v[56:57], v[64:65], 2.0, -v[32:33]
	v_fma_f64 v[54:55], v[10:11], 2.0, -v[30:31]
	v_fma_f64 v[10:11], v[58:59], 2.0, -v[36:37]
	v_fma_f64 v[8:9], v[4:5], 2.0, -v[34:35]
	v_lshlrev_b64 v[88:89], 4, v[28:29]
	v_mad_u32_u24 v28, 0x2ca, v114, v107
	v_fma_f64 v[4:5], v[60:61], 2.0, -v[40:41]
	v_fma_f64 v[2:3], v[6:7], 2.0, -v[38:39]
	;; [unrolled: 1-line block ×4, first 2 shown]
	v_lshlrev_b64 v[92:93], 4, v[28:29]
	v_add_nc_u32_e32 v28, 0x165, v28
	v_add_co_u32 v0, vcc_lo, v109, v88
	v_add_co_ci_u32_e32 v1, vcc_lo, v116, v89, vcc_lo
	s_delay_alu instid0(VALU_DEP_3) | instskip(SKIP_3) | instid1(VALU_DEP_3)
	v_lshlrev_b64 v[6:7], 4, v[28:29]
	v_mad_u32_u24 v28, 0x2ca, v115, v108
	v_add_co_u32 v62, vcc_lo, v109, v92
	v_add_co_ci_u32_e32 v63, vcc_lo, v116, v93, vcc_lo
	v_lshlrev_b64 v[64:65], 4, v[28:29]
	v_add_nc_u32_e32 v28, 0x165, v28
	v_add_co_u32 v6, vcc_lo, v109, v6
	v_add_co_ci_u32_e32 v7, vcc_lo, v116, v7, vcc_lo
	s_delay_alu instid0(VALU_DEP_3) | instskip(SKIP_2) | instid1(VALU_DEP_3)
	v_lshlrev_b64 v[28:29], 4, v[28:29]
	v_add_co_u32 v64, vcc_lo, v109, v64
	v_add_co_ci_u32_e32 v65, vcc_lo, v116, v65, vcc_lo
	v_add_co_u32 v28, vcc_lo, v109, v28
	s_delay_alu instid0(VALU_DEP_4)
	v_add_co_ci_u32_e32 v29, vcc_lo, v116, v29, vcc_lo
	s_clause 0xd
	global_store_b128 v[86:87], v[46:49], off
	global_store_b128 v[74:75], v[16:19], off offset:1616
	global_store_b128 v[76:77], v[50:53], off
	global_store_b128 v[78:79], v[20:23], off
	;; [unrolled: 1-line block ×12, first 2 shown]
.LBB0_29:
	s_nop 0
	s_sendmsg sendmsg(MSG_DEALLOC_VGPRS)
	s_endpgm
	.section	.rodata,"a",@progbits
	.p2align	6, 0x0
	.amdhsa_kernel fft_rtc_back_len714_factors_3_17_7_2_wgs_51_tpt_51_halfLds_dp_op_CI_CI_unitstride_sbrr_dirReg
		.amdhsa_group_segment_fixed_size 0
		.amdhsa_private_segment_fixed_size 0
		.amdhsa_kernarg_size 104
		.amdhsa_user_sgpr_count 15
		.amdhsa_user_sgpr_dispatch_ptr 0
		.amdhsa_user_sgpr_queue_ptr 0
		.amdhsa_user_sgpr_kernarg_segment_ptr 1
		.amdhsa_user_sgpr_dispatch_id 0
		.amdhsa_user_sgpr_private_segment_size 0
		.amdhsa_wavefront_size32 1
		.amdhsa_uses_dynamic_stack 0
		.amdhsa_enable_private_segment 0
		.amdhsa_system_sgpr_workgroup_id_x 1
		.amdhsa_system_sgpr_workgroup_id_y 0
		.amdhsa_system_sgpr_workgroup_id_z 0
		.amdhsa_system_sgpr_workgroup_info 0
		.amdhsa_system_vgpr_workitem_id 0
		.amdhsa_next_free_vgpr 221
		.amdhsa_next_free_sgpr 58
		.amdhsa_reserve_vcc 1
		.amdhsa_float_round_mode_32 0
		.amdhsa_float_round_mode_16_64 0
		.amdhsa_float_denorm_mode_32 3
		.amdhsa_float_denorm_mode_16_64 3
		.amdhsa_dx10_clamp 1
		.amdhsa_ieee_mode 1
		.amdhsa_fp16_overflow 0
		.amdhsa_workgroup_processor_mode 1
		.amdhsa_memory_ordered 1
		.amdhsa_forward_progress 0
		.amdhsa_shared_vgpr_count 0
		.amdhsa_exception_fp_ieee_invalid_op 0
		.amdhsa_exception_fp_denorm_src 0
		.amdhsa_exception_fp_ieee_div_zero 0
		.amdhsa_exception_fp_ieee_overflow 0
		.amdhsa_exception_fp_ieee_underflow 0
		.amdhsa_exception_fp_ieee_inexact 0
		.amdhsa_exception_int_div_zero 0
	.end_amdhsa_kernel
	.text
.Lfunc_end0:
	.size	fft_rtc_back_len714_factors_3_17_7_2_wgs_51_tpt_51_halfLds_dp_op_CI_CI_unitstride_sbrr_dirReg, .Lfunc_end0-fft_rtc_back_len714_factors_3_17_7_2_wgs_51_tpt_51_halfLds_dp_op_CI_CI_unitstride_sbrr_dirReg
                                        ; -- End function
	.section	.AMDGPU.csdata,"",@progbits
; Kernel info:
; codeLenInByte = 14188
; NumSgprs: 60
; NumVgprs: 221
; ScratchSize: 0
; MemoryBound: 1
; FloatMode: 240
; IeeeMode: 1
; LDSByteSize: 0 bytes/workgroup (compile time only)
; SGPRBlocks: 7
; VGPRBlocks: 27
; NumSGPRsForWavesPerEU: 60
; NumVGPRsForWavesPerEU: 221
; Occupancy: 6
; WaveLimiterHint : 1
; COMPUTE_PGM_RSRC2:SCRATCH_EN: 0
; COMPUTE_PGM_RSRC2:USER_SGPR: 15
; COMPUTE_PGM_RSRC2:TRAP_HANDLER: 0
; COMPUTE_PGM_RSRC2:TGID_X_EN: 1
; COMPUTE_PGM_RSRC2:TGID_Y_EN: 0
; COMPUTE_PGM_RSRC2:TGID_Z_EN: 0
; COMPUTE_PGM_RSRC2:TIDIG_COMP_CNT: 0
	.text
	.p2alignl 7, 3214868480
	.fill 96, 4, 3214868480
	.type	__hip_cuid_2dd2272410b7016c,@object ; @__hip_cuid_2dd2272410b7016c
	.section	.bss,"aw",@nobits
	.globl	__hip_cuid_2dd2272410b7016c
__hip_cuid_2dd2272410b7016c:
	.byte	0                               ; 0x0
	.size	__hip_cuid_2dd2272410b7016c, 1

	.ident	"AMD clang version 19.0.0git (https://github.com/RadeonOpenCompute/llvm-project roc-6.4.0 25133 c7fe45cf4b819c5991fe208aaa96edf142730f1d)"
	.section	".note.GNU-stack","",@progbits
	.addrsig
	.addrsig_sym __hip_cuid_2dd2272410b7016c
	.amdgpu_metadata
---
amdhsa.kernels:
  - .args:
      - .actual_access:  read_only
        .address_space:  global
        .offset:         0
        .size:           8
        .value_kind:     global_buffer
      - .offset:         8
        .size:           8
        .value_kind:     by_value
      - .actual_access:  read_only
        .address_space:  global
        .offset:         16
        .size:           8
        .value_kind:     global_buffer
      - .actual_access:  read_only
        .address_space:  global
        .offset:         24
        .size:           8
        .value_kind:     global_buffer
      - .actual_access:  read_only
        .address_space:  global
        .offset:         32
        .size:           8
        .value_kind:     global_buffer
      - .offset:         40
        .size:           8
        .value_kind:     by_value
      - .actual_access:  read_only
        .address_space:  global
        .offset:         48
        .size:           8
        .value_kind:     global_buffer
      - .actual_access:  read_only
        .address_space:  global
        .offset:         56
        .size:           8
        .value_kind:     global_buffer
      - .offset:         64
        .size:           4
        .value_kind:     by_value
      - .actual_access:  read_only
        .address_space:  global
        .offset:         72
        .size:           8
        .value_kind:     global_buffer
      - .actual_access:  read_only
        .address_space:  global
        .offset:         80
        .size:           8
        .value_kind:     global_buffer
      - .actual_access:  read_only
        .address_space:  global
        .offset:         88
        .size:           8
        .value_kind:     global_buffer
      - .actual_access:  write_only
        .address_space:  global
        .offset:         96
        .size:           8
        .value_kind:     global_buffer
    .group_segment_fixed_size: 0
    .kernarg_segment_align: 8
    .kernarg_segment_size: 104
    .language:       OpenCL C
    .language_version:
      - 2
      - 0
    .max_flat_workgroup_size: 51
    .name:           fft_rtc_back_len714_factors_3_17_7_2_wgs_51_tpt_51_halfLds_dp_op_CI_CI_unitstride_sbrr_dirReg
    .private_segment_fixed_size: 0
    .sgpr_count:     60
    .sgpr_spill_count: 0
    .symbol:         fft_rtc_back_len714_factors_3_17_7_2_wgs_51_tpt_51_halfLds_dp_op_CI_CI_unitstride_sbrr_dirReg.kd
    .uniform_work_group_size: 1
    .uses_dynamic_stack: false
    .vgpr_count:     221
    .vgpr_spill_count: 0
    .wavefront_size: 32
    .workgroup_processor_mode: 1
amdhsa.target:   amdgcn-amd-amdhsa--gfx1100
amdhsa.version:
  - 1
  - 2
...

	.end_amdgpu_metadata
